;; amdgpu-corpus repo=ROCm/rocFFT kind=compiled arch=gfx1201 opt=O3
	.text
	.amdgcn_target "amdgcn-amd-amdhsa--gfx1201"
	.amdhsa_code_object_version 6
	.protected	bluestein_single_back_len3888_dim1_dp_op_CI_CI ; -- Begin function bluestein_single_back_len3888_dim1_dp_op_CI_CI
	.globl	bluestein_single_back_len3888_dim1_dp_op_CI_CI
	.p2align	8
	.type	bluestein_single_back_len3888_dim1_dp_op_CI_CI,@function
bluestein_single_back_len3888_dim1_dp_op_CI_CI: ; @bluestein_single_back_len3888_dim1_dp_op_CI_CI
; %bb.0:
	s_load_b128 s[8:11], s[0:1], 0x28
	v_mul_u32_u24_e32 v1, 0x195, v0
	s_mov_b32 s2, exec_lo
	v_mov_b32_e32 v242, 0
	s_delay_alu instid0(VALU_DEP_2) | instskip(NEXT) | instid1(VALU_DEP_1)
	v_lshrrev_b32_e32 v1, 17, v1
	v_add_nc_u32_e32 v241, ttmp9, v1
	s_wait_kmcnt 0x0
	s_delay_alu instid0(VALU_DEP_1)
	v_cmpx_gt_u64_e64 s[8:9], v[241:242]
	s_cbranch_execz .LBB0_15
; %bb.1:
	s_clause 0x1
	s_load_b64 s[8:9], s[0:1], 0x0
	s_load_b64 s[12:13], s[0:1], 0x38
	v_mul_lo_u16 v1, 0x144, v1
	s_delay_alu instid0(VALU_DEP_1) | instskip(NEXT) | instid1(VALU_DEP_1)
	v_sub_nc_u16 v0, v0, v1
	v_and_b32_e32 v242, 0xffff, v0
	v_cmp_gt_u16_e32 vcc_lo, 0xf3, v0
	s_delay_alu instid0(VALU_DEP_2)
	v_lshlrev_b32_e32 v225, 4, v242
	s_and_saveexec_b32 s3, vcc_lo
	s_cbranch_execz .LBB0_3
; %bb.2:
	s_load_b64 s[4:5], s[0:1], 0x18
	s_wait_kmcnt 0x0
	s_load_b128 s[4:7], s[4:5], 0x0
	s_wait_kmcnt 0x0
	v_mad_co_u64_u32 v[8:9], null, s6, v241, 0
	v_mad_co_u64_u32 v[24:25], null, s4, v242, 0
	s_delay_alu instid0(VALU_DEP_1) | instskip(NEXT) | instid1(VALU_DEP_1)
	v_dual_mov_b32 v0, v9 :: v_dual_mov_b32 v1, v25
	v_mad_co_u64_u32 v[2:3], null, s7, v241, v[0:1]
	s_delay_alu instid0(VALU_DEP_1)
	v_mad_co_u64_u32 v[10:11], null, s5, v242, v[1:2]
	v_mov_b32_e32 v9, v2
	s_mul_u64 s[4:5], s[4:5], 0xf30
	s_clause 0x1
	global_load_b128 v[0:3], v225, s[8:9]
	global_load_b128 v[4:7], v225, s[8:9] offset:3888
	v_lshlrev_b64_e32 v[26:27], 4, v[8:9]
	v_mov_b32_e32 v25, v10
	s_clause 0x3
	global_load_b128 v[8:11], v225, s[8:9] offset:7776
	global_load_b128 v[12:15], v225, s[8:9] offset:11664
	;; [unrolled: 1-line block ×4, first 2 shown]
	v_add_co_u32 v34, s2, s10, v26
	v_lshlrev_b64_e32 v[32:33], 4, v[24:25]
	v_add_co_ci_u32_e64 v35, s2, s11, v27, s2
	s_clause 0x1
	global_load_b128 v[24:27], v225, s[8:9] offset:23328
	global_load_b128 v[28:31], v225, s[8:9] offset:27216
	v_add_co_u32 v56, s2, v34, v32
	s_wait_alu 0xf1ff
	v_add_co_ci_u32_e64 v57, s2, v35, v33, s2
	s_clause 0x1
	global_load_b128 v[32:35], v225, s[8:9] offset:31104
	global_load_b128 v[36:39], v225, s[8:9] offset:34992
	s_wait_alu 0xfffe
	v_add_co_u32 v60, s2, v56, s4
	s_wait_alu 0xf1ff
	v_add_co_ci_u32_e64 v61, s2, s5, v57, s2
	s_clause 0x1
	global_load_b128 v[40:43], v225, s[8:9] offset:38880
	global_load_b128 v[44:47], v225, s[8:9] offset:42768
	v_add_co_u32 v64, s2, v60, s4
	s_wait_alu 0xf1ff
	v_add_co_ci_u32_e64 v65, s2, s5, v61, s2
	s_clause 0x1
	global_load_b128 v[48:51], v225, s[8:9] offset:46656
	global_load_b128 v[52:55], v225, s[8:9] offset:50544
	v_add_co_u32 v68, s2, v64, s4
	s_wait_alu 0xf1ff
	v_add_co_ci_u32_e64 v69, s2, s5, v65, s2
	s_clause 0x1
	global_load_b128 v[56:59], v[56:57], off
	global_load_b128 v[60:63], v[60:61], off
	v_add_co_u32 v72, s2, v68, s4
	s_wait_alu 0xf1ff
	v_add_co_ci_u32_e64 v73, s2, s5, v69, s2
	s_clause 0x1
	global_load_b128 v[64:67], v[64:65], off
	global_load_b128 v[68:71], v[68:69], off
	v_add_co_u32 v76, s2, v72, s4
	s_wait_alu 0xf1ff
	v_add_co_ci_u32_e64 v77, s2, s5, v73, s2
	global_load_b128 v[72:75], v[72:73], off
	v_add_co_u32 v80, s2, v76, s4
	s_wait_alu 0xf1ff
	v_add_co_ci_u32_e64 v81, s2, s5, v77, s2
	;; [unrolled: 4-line block ×10, first 2 shown]
	s_delay_alu instid0(VALU_DEP_2) | instskip(SKIP_1) | instid1(VALU_DEP_2)
	v_add_co_u32 v124, s2, v112, s4
	s_wait_alu 0xf1ff
	v_add_co_ci_u32_e64 v125, s2, s5, v113, s2
	global_load_b128 v[108:111], v[108:109], off
	global_load_b128 v[112:115], v[112:113], off
	s_clause 0x1
	global_load_b128 v[116:119], v225, s[8:9] offset:54432
	global_load_b128 v[120:123], v225, s[8:9] offset:58320
	global_load_b128 v[124:127], v[124:125], off
	s_wait_loadcnt 0x11
	v_mul_f64_e32 v[128:129], v[58:59], v[2:3]
	v_mul_f64_e32 v[2:3], v[56:57], v[2:3]
	s_wait_loadcnt 0x10
	v_mul_f64_e32 v[130:131], v[62:63], v[6:7]
	v_mul_f64_e32 v[6:7], v[60:61], v[6:7]
	;; [unrolled: 3-line block ×16, first 2 shown]
	v_fma_f64 v[54:55], v[56:57], v[0:1], v[128:129]
	v_fma_f64 v[56:57], v[58:59], v[0:1], -v[2:3]
	v_fma_f64 v[0:1], v[60:61], v[4:5], v[130:131]
	v_fma_f64 v[2:3], v[62:63], v[4:5], -v[6:7]
	;; [unrolled: 2-line block ×16, first 2 shown]
	ds_store_b128 v225, v[0:3] offset:3888
	ds_store_b128 v225, v[4:7] offset:7776
	;; [unrolled: 1-line block ×14, first 2 shown]
	ds_store_b128 v225, v[54:57]
	ds_store_b128 v225, v[62:65] offset:58320
.LBB0_3:
	s_or_b32 exec_lo, exec_lo, s3
	s_clause 0x1
	s_load_b64 s[4:5], s[0:1], 0x20
	s_load_b64 s[2:3], s[0:1], 0x8
	global_wb scope:SCOPE_SE
	s_wait_dscnt 0x0
	s_wait_kmcnt 0x0
	s_barrier_signal -1
	s_barrier_wait -1
	global_inv scope:SCOPE_SE
                                        ; implicit-def: $vgpr32_vgpr33
                                        ; implicit-def: $vgpr12_vgpr13
                                        ; implicit-def: $vgpr28_vgpr29
                                        ; implicit-def: $vgpr56_vgpr57
                                        ; implicit-def: $vgpr60_vgpr61
                                        ; implicit-def: $vgpr48_vgpr49
                                        ; implicit-def: $vgpr52_vgpr53
                                        ; implicit-def: $vgpr40_vgpr41
                                        ; implicit-def: $vgpr44_vgpr45
                                        ; implicit-def: $vgpr36_vgpr37
                                        ; implicit-def: $vgpr24_vgpr25
                                        ; implicit-def: $vgpr20_vgpr21
                                        ; implicit-def: $vgpr16_vgpr17
                                        ; implicit-def: $vgpr8_vgpr9
                                        ; implicit-def: $vgpr4_vgpr5
                                        ; implicit-def: $vgpr0_vgpr1
	s_and_saveexec_b32 s0, vcc_lo
	s_cbranch_execz .LBB0_5
; %bb.4:
	ds_load_b128 v[0:3], v225 offset:3888
	ds_load_b128 v[4:7], v225 offset:7776
	ds_load_b128 v[8:11], v225 offset:11664
	ds_load_b128 v[16:19], v225 offset:15552
	ds_load_b128 v[20:23], v225 offset:19440
	ds_load_b128 v[12:15], v225 offset:23328
	ds_load_b128 v[24:27], v225 offset:27216
	ds_load_b128 v[36:39], v225 offset:31104
	ds_load_b128 v[28:31], v225 offset:34992
	ds_load_b128 v[44:47], v225 offset:38880
	ds_load_b128 v[40:43], v225 offset:42768
	ds_load_b128 v[52:55], v225 offset:46656
	ds_load_b128 v[48:51], v225 offset:50544
	ds_load_b128 v[60:63], v225 offset:54432
	ds_load_b128 v[32:35], v225
	ds_load_b128 v[56:59], v225 offset:58320
.LBB0_5:
	s_wait_alu 0xfffe
	s_or_b32 exec_lo, exec_lo, s0
	s_wait_dscnt 0x1
	v_add_f64_e64 v[64:65], v[32:33], -v[36:37]
	v_add_f64_e64 v[66:67], v[34:35], -v[38:39]
	;; [unrolled: 1-line block ×14, first 2 shown]
	s_wait_dscnt 0x0
	v_add_f64_e64 v[58:59], v[26:27], -v[58:59]
	v_add_f64_e64 v[56:57], v[24:25], -v[56:57]
	s_mov_b32 s0, 0x667f3bcd
	s_mov_b32 s1, 0xbfe6a09e
	;; [unrolled: 1-line block ×3, first 2 shown]
	s_wait_alu 0xfffe
	s_mov_b32 s6, s0
	s_mov_b32 s10, 0xa6aea964
	;; [unrolled: 1-line block ×8, first 2 shown]
	s_wait_alu 0xfffe
	s_mov_b32 s18, s10
	v_lshlrev_b16 v224, 4, v242
	global_wb scope:SCOPE_SE
	s_barrier_signal -1
	s_barrier_wait -1
	global_inv scope:SCOPE_SE
	v_fma_f64 v[32:33], v[32:33], 2.0, -v[64:65]
	v_fma_f64 v[34:35], v[34:35], 2.0, -v[66:67]
	v_add_f64_e32 v[30:31], v[66:67], v[52:53]
	v_add_f64_e64 v[28:29], v[64:65], -v[54:55]
	v_fma_f64 v[16:17], v[16:17], 2.0, -v[52:53]
	v_fma_f64 v[18:19], v[18:19], 2.0, -v[54:55]
	v_add_f64_e32 v[74:75], v[60:61], v[46:47]
	v_add_f64_e64 v[72:73], v[44:45], -v[62:63]
	v_fma_f64 v[52:53], v[4:5], 2.0, -v[44:45]
	v_fma_f64 v[80:81], v[6:7], 2.0, -v[46:47]
	v_add_f64_e32 v[38:39], v[48:49], v[70:71]
	v_add_f64_e64 v[36:37], v[68:69], -v[50:51]
	v_fma_f64 v[12:13], v[12:13], 2.0, -v[60:61]
	v_fma_f64 v[14:15], v[14:15], 2.0, -v[62:63]
	v_add_f64_e64 v[78:79], v[40:41], -v[58:59]
	v_add_f64_e32 v[76:77], v[56:57], v[42:43]
	v_fma_f64 v[62:63], v[0:1], 2.0, -v[68:69]
	v_fma_f64 v[82:83], v[2:3], 2.0, -v[70:71]
	;; [unrolled: 1-line block ×10, first 2 shown]
	v_add_f64_e64 v[24:25], v[32:33], -v[16:17]
	v_add_f64_e64 v[54:55], v[34:35], -v[18:19]
	v_fma_f64 v[58:59], v[46:47], 2.0, -v[74:75]
	v_fma_f64 v[44:45], v[44:45], 2.0, -v[72:73]
	;; [unrolled: 1-line block ×4, first 2 shown]
	v_add_f64_e64 v[12:13], v[52:53], -v[12:13]
	v_add_f64_e64 v[14:15], v[80:81], -v[14:15]
	v_fma_f64 v[64:65], v[40:41], 2.0, -v[78:79]
	v_fma_f64 v[66:67], v[42:43], 2.0, -v[76:77]
	v_fma_f64 v[40:41], v[78:79], s[6:7], v[36:37]
	v_fma_f64 v[88:89], v[76:77], s[6:7], v[38:39]
	v_add_f64_e64 v[56:57], v[62:63], -v[20:21]
	v_add_f64_e64 v[60:61], v[82:83], -v[22:23]
	v_fma_f64 v[20:21], v[72:73], s[6:7], v[28:29]
	v_fma_f64 v[22:23], v[74:75], s[6:7], v[30:31]
	v_add_f64_e64 v[16:17], v[8:9], -v[48:49]
	v_add_f64_e64 v[18:19], v[10:11], -v[26:27]
	v_fma_f64 v[46:47], v[32:33], 2.0, -v[24:25]
	v_fma_f64 v[50:51], v[34:35], 2.0, -v[54:55]
	v_fma_f64 v[70:71], v[58:59], s[0:1], v[2:3]
	v_fma_f64 v[68:69], v[44:45], s[0:1], v[0:1]
	v_fma_f64 v[90:91], v[52:53], 2.0, -v[12:13]
	v_fma_f64 v[80:81], v[80:81], 2.0, -v[14:15]
	v_fma_f64 v[84:85], v[64:65], s[0:1], v[4:5]
	v_fma_f64 v[86:87], v[66:67], s[0:1], v[6:7]
	v_add_f64_e64 v[26:27], v[24:25], -v[14:15]
	v_add_f64_e32 v[34:35], v[54:55], v[12:13]
	v_fma_f64 v[48:49], v[62:63], 2.0, -v[56:57]
	v_fma_f64 v[52:53], v[82:83], 2.0, -v[60:61]
	v_fma_f64 v[32:33], v[74:75], s[0:1], v[20:21]
	v_fma_f64 v[42:43], v[72:73], s[6:7], v[22:23]
	v_fma_f64 v[8:9], v[8:9], 2.0, -v[16:17]
	v_fma_f64 v[10:11], v[10:11], 2.0, -v[18:19]
	v_add_f64_e64 v[72:73], v[56:57], -v[18:19]
	v_add_f64_e32 v[74:75], v[16:17], v[60:61]
	v_fma_f64 v[76:77], v[76:77], s[0:1], v[40:41]
	v_fma_f64 v[78:79], v[78:79], s[6:7], v[88:89]
	;; [unrolled: 1-line block ×4, first 2 shown]
	v_add_f64_e64 v[58:59], v[46:47], -v[90:91]
	v_add_f64_e64 v[62:63], v[50:51], -v[80:81]
	v_fma_f64 v[66:67], v[66:67], s[0:1], v[84:85]
	v_fma_f64 v[68:69], v[64:65], s[6:7], v[86:87]
	v_add_f64_e64 v[64:65], v[48:49], -v[8:9]
	v_add_f64_e64 v[70:71], v[52:53], -v[10:11]
	v_fma_f64 v[8:9], v[72:73], s[6:7], v[26:27]
	v_fma_f64 v[10:11], v[74:75], s[6:7], v[34:35]
	v_fma_f64 v[12:13], v[76:77], s[16:17], v[32:33]
	v_fma_f64 v[18:19], v[78:79], s[16:17], v[42:43]
	v_fma_f64 v[14:15], v[66:67], s[10:11], v[40:41]
	v_fma_f64 v[16:17], v[68:69], s[10:11], v[44:45]
	v_add_f64_e32 v[235:236], v[62:63], v[64:65]
	v_add_f64_e64 v[233:234], v[58:59], -v[70:71]
	v_fma_f64 v[20:21], v[74:75], s[0:1], v[8:9]
	v_fma_f64 v[22:23], v[72:73], s[6:7], v[10:11]
	;; [unrolled: 1-line block ×6, first 2 shown]
	s_and_saveexec_b32 s20, vcc_lo
	s_cbranch_execz .LBB0_7
; %bb.6:
	v_fma_f64 v[12:13], v[36:37], 2.0, -v[76:77]
	v_fma_f64 v[16:17], v[60:61], 2.0, -v[74:75]
	;; [unrolled: 1-line block ×19, first 2 shown]
	v_fma_f64 v[38:39], v[36:37], s[14:15], v[56:57]
	v_fma_f64 v[46:47], v[4:5], s[14:15], v[60:61]
	;; [unrolled: 1-line block ×6, first 2 shown]
	v_add_f64_e64 v[2:3], v[24:25], -v[0:1]
	v_add_f64_e64 v[0:1], v[70:71], -v[6:7]
	v_fma_f64 v[38:39], v[4:5], s[10:11], v[38:39]
	v_fma_f64 v[36:37], v[36:37], s[18:19], v[46:47]
	v_fma_f64 v[46:47], v[34:35], 2.0, -v[22:23]
	v_fma_f64 v[6:7], v[12:13], s[16:17], v[28:29]
	v_fma_f64 v[30:31], v[18:19], s[6:7], v[30:31]
	v_fma_f64 v[28:29], v[16:17], s[0:1], v[48:49]
	v_fma_f64 v[4:5], v[10:11], s[14:15], v[50:51]
	v_fma_f64 v[50:51], v[44:45], 2.0, -v[239:240]
	v_fma_f64 v[48:49], v[40:41], 2.0, -v[237:238]
	;; [unrolled: 1-line block ×12, first 2 shown]
	v_and_b32_e32 v8, 0xffff, v224
	s_delay_alu instid0(VALU_DEP_1)
	v_lshlrev_b32_e32 v8, 4, v8
	ds_store_b128 v8, v[233:236] offset:192
	ds_store_b128 v8, v[237:240] offset:208
	;; [unrolled: 1-line block ×10, first 2 shown]
	ds_store_b128 v8, v[24:27]
	ds_store_b128 v8, v[60:63] offset:16
	ds_store_b128 v8, v[56:59] offset:32
	;; [unrolled: 1-line block ×5, first 2 shown]
.LBB0_7:
	s_or_b32 exec_lo, exec_lo, s20
	v_and_b32_e32 v24, 15, v242
	s_load_b128 s[4:7], s[4:5], 0x0
	global_wb scope:SCOPE_SE
	s_wait_dscnt 0x0
	s_wait_kmcnt 0x0
	s_barrier_signal -1
	s_barrier_wait -1
	v_lshlrev_b32_e32 v0, 5, v24
	global_inv scope:SCOPE_SE
	v_add_co_u32 v52, s0, 0x144, v242
	v_add_co_u32 v136, null, 0x288, v242
	s_clause 0x1
	global_load_b128 v[12:15], v0, s[2:3]
	global_load_b128 v[2:5], v0, s[2:3] offset:16
	v_and_b32_e32 v0, 15, v52
	v_add_co_u32 v144, null, 0x3cc, v242
	s_mov_b32 s10, 0xe8584caa
	s_mov_b32 s11, 0x3febb67a
	s_delay_alu instid0(VALU_DEP_2)
	v_lshlrev_b32_e32 v1, 5, v0
	s_mov_b32 s15, 0xbfebb67a
	s_wait_alu 0xfffe
	s_mov_b32 s14, s10
	s_clause 0x1
	global_load_b128 v[156:159], v1, s[2:3]
	global_load_b128 v[152:155], v1, s[2:3] offset:16
	v_and_b32_e32 v1, 0xffff, v242
	v_add_co_ci_u32_e64 v53, null, 0, 0, s0
	s_delay_alu instid0(VALU_DEP_2)
	v_lshlrev_b32_e32 v228, 4, v1
	ds_load_b128 v[25:28], v228 offset:20736
	ds_load_b128 v[29:32], v228 offset:15552
	;; [unrolled: 1-line block ×4, first 2 shown]
	s_wait_loadcnt_dscnt 0x303
	v_mul_f64_e32 v[8:9], v[27:28], v[14:15]
	v_mul_f64_e32 v[10:11], v[25:26], v[14:15]
	scratch_store_b128 off, v[12:15], off offset:16 ; 16-byte Folded Spill
	s_wait_loadcnt 0x2
	scratch_store_b128 off, v[2:5], off     ; 16-byte Folded Spill
	s_wait_dscnt 0x1
	v_mul_f64_e32 v[14:15], v[33:34], v[4:5]
	v_fma_f64 v[8:9], v[25:26], v[12:13], -v[8:9]
	v_fma_f64 v[10:11], v[27:28], v[12:13], v[10:11]
	v_mul_f64_e32 v[12:13], v[35:36], v[4:5]
	s_delay_alu instid0(VALU_DEP_4) | instskip(NEXT) | instid1(VALU_DEP_2)
	v_fma_f64 v[14:15], v[35:36], v[2:3], v[14:15]
	v_fma_f64 v[12:13], v[33:34], v[2:3], -v[12:13]
	ds_load_b128 v[25:28], v228 offset:25920
	ds_load_b128 v[33:36], v228 offset:31104
	v_and_b32_e32 v2, 15, v136
	s_delay_alu instid0(VALU_DEP_1) | instskip(SKIP_3) | instid1(VALU_DEP_2)
	v_lshlrev_b32_e32 v3, 5, v2
	s_wait_loadcnt_dscnt 0x101
	v_mul_f64_e32 v[16:17], v[27:28], v[158:159]
	v_mul_f64_e32 v[18:19], v[25:26], v[158:159]
	v_fma_f64 v[16:17], v[25:26], v[156:157], -v[16:17]
	s_delay_alu instid0(VALU_DEP_2)
	v_fma_f64 v[18:19], v[27:28], v[156:157], v[18:19]
	ds_load_b128 v[25:28], v228 offset:46656
	ds_load_b128 v[41:44], v228 offset:51840
	s_clause 0x1
	global_load_b128 v[164:167], v3, s[2:3]
	global_load_b128 v[160:163], v3, s[2:3] offset:16
	v_and_b32_e32 v3, 15, v144
	s_delay_alu instid0(VALU_DEP_1) | instskip(SKIP_4) | instid1(VALU_DEP_1)
	v_lshlrev_b32_e32 v4, 5, v3
	s_clause 0x1
	global_load_b128 v[172:175], v4, s[2:3]
	global_load_b128 v[168:171], v4, s[2:3] offset:16
	v_lshrrev_b32_e32 v4, 4, v242
	v_mul_u32_u24_e32 v4, 48, v4
	s_wait_loadcnt_dscnt 0x401
	v_mul_f64_e32 v[45:46], v[27:28], v[154:155]
	s_delay_alu instid0(VALU_DEP_2) | instskip(NEXT) | instid1(VALU_DEP_1)
	v_or_b32_e32 v4, v4, v24
	v_lshlrev_b32_e32 v4, 4, v4
	s_delay_alu instid0(VALU_DEP_3) | instskip(SKIP_1) | instid1(VALU_DEP_1)
	v_fma_f64 v[49:50], v[25:26], v[152:153], -v[45:46]
	v_mul_f64_e32 v[25:26], v[25:26], v[154:155]
	v_fma_f64 v[54:55], v[27:28], v[152:153], v[25:26]
	s_wait_loadcnt 0x3
	v_mul_f64_e32 v[25:26], v[35:36], v[166:167]
	s_delay_alu instid0(VALU_DEP_1) | instskip(SKIP_1) | instid1(VALU_DEP_1)
	v_fma_f64 v[62:63], v[33:34], v[164:165], -v[25:26]
	v_mul_f64_e32 v[25:26], v[33:34], v[166:167]
	v_fma_f64 v[64:65], v[35:36], v[164:165], v[25:26]
	s_wait_loadcnt_dscnt 0x200
	v_mul_f64_e32 v[25:26], v[43:44], v[162:163]
	s_delay_alu instid0(VALU_DEP_1) | instskip(SKIP_1) | instid1(VALU_DEP_1)
	v_fma_f64 v[66:67], v[41:42], v[160:161], -v[25:26]
	v_mul_f64_e32 v[25:26], v[41:42], v[162:163]
	v_fma_f64 v[68:69], v[43:44], v[160:161], v[25:26]
	s_wait_loadcnt 0x1
	v_mul_f64_e32 v[25:26], v[39:40], v[174:175]
	s_delay_alu instid0(VALU_DEP_1) | instskip(SKIP_1) | instid1(VALU_DEP_1)
	v_fma_f64 v[70:71], v[37:38], v[172:173], -v[25:26]
	v_mul_f64_e32 v[25:26], v[37:38], v[174:175]
	v_fma_f64 v[72:73], v[39:40], v[172:173], v[25:26]
	ds_load_b128 v[25:28], v228 offset:57024
	ds_load_b128 v[33:36], v228
	ds_load_b128 v[41:44], v228 offset:5184
	ds_load_b128 v[45:48], v228 offset:10368
	global_wb scope:SCOPE_SE
	s_wait_storecnt 0x0
	s_wait_loadcnt_dscnt 0x0
	s_barrier_signal -1
	s_barrier_wait -1
	global_inv scope:SCOPE_SE
	v_mul_f64_e32 v[37:38], v[27:28], v[170:171]
	s_delay_alu instid0(VALU_DEP_1) | instskip(SKIP_1) | instid1(VALU_DEP_1)
	v_fma_f64 v[74:75], v[25:26], v[168:169], -v[37:38]
	v_mul_f64_e32 v[25:26], v[25:26], v[170:171]
	v_fma_f64 v[76:77], v[27:28], v[168:169], v[25:26]
	v_add_f64_e32 v[25:26], v[8:9], v[12:13]
	s_delay_alu instid0(VALU_DEP_1) | instskip(SKIP_3) | instid1(VALU_DEP_3)
	v_fma_f64 v[37:38], v[25:26], -0.5, v[33:34]
	v_add_f64_e32 v[25:26], v[10:11], v[14:15]
	v_add_f64_e32 v[33:34], v[33:34], v[8:9]
	v_add_f64_e64 v[8:9], v[8:9], -v[12:13]
	v_fma_f64 v[39:40], v[25:26], -0.5, v[35:36]
	v_add_f64_e32 v[25:26], v[35:36], v[10:11]
	v_add_f64_e64 v[10:11], v[10:11], -v[14:15]
	s_wait_alu 0xfffe
	s_delay_alu instid0(VALU_DEP_3) | instskip(NEXT) | instid1(VALU_DEP_3)
	v_fma_f64 v[35:36], v[8:9], s[14:15], v[39:40]
	v_add_f64_e32 v[27:28], v[25:26], v[14:15]
	v_add_f64_e32 v[25:26], v[33:34], v[12:13]
	s_delay_alu instid0(VALU_DEP_4)
	v_fma_f64 v[33:34], v[10:11], s[10:11], v[37:38]
	v_fma_f64 v[37:38], v[10:11], s[14:15], v[37:38]
	;; [unrolled: 1-line block ×3, first 2 shown]
	v_add_f64_e32 v[8:9], v[16:17], v[49:50]
	v_add_f64_e32 v[10:11], v[18:19], v[54:55]
	;; [unrolled: 1-line block ×3, first 2 shown]
	v_add_f64_e64 v[18:19], v[18:19], -v[54:55]
	v_add_f64_e32 v[14:15], v[41:42], v[16:17]
	ds_store_b128 v4, v[25:28]
	ds_store_b128 v4, v[33:36] offset:256
	scratch_store_b32 off, v4, off offset:104 ; 4-byte Folded Spill
	ds_store_b128 v4, v[37:40] offset:512
	v_fma_f64 v[8:9], v[8:9], -0.5, v[41:42]
	v_fma_f64 v[10:11], v[10:11], -0.5, v[43:44]
	v_add_f64_e32 v[43:44], v[12:13], v[54:55]
	v_add_f64_e64 v[12:13], v[16:17], -v[49:50]
	v_add_f64_e32 v[41:42], v[14:15], v[49:50]
	v_add_f64_e32 v[14:15], v[45:46], v[62:63]
	v_add_f64_e64 v[16:17], v[64:65], -v[68:69]
	v_lshrrev_b32_e32 v4, 4, v52
	s_delay_alu instid0(VALU_DEP_1) | instskip(NEXT) | instid1(VALU_DEP_1)
	v_mul_u32_u24_e32 v4, 48, v4
	v_or_b32_e32 v0, v4, v0
	s_delay_alu instid0(VALU_DEP_1)
	v_lshlrev_b32_e32 v0, 4, v0
	v_fma_f64 v[54:55], v[18:19], s[10:11], v[8:9]
	v_fma_f64 v[58:59], v[18:19], s[14:15], v[8:9]
	v_add_f64_e32 v[8:9], v[62:63], v[66:67]
	v_fma_f64 v[56:57], v[12:13], s[14:15], v[10:11]
	v_fma_f64 v[60:61], v[12:13], s[10:11], v[10:11]
	v_add_f64_e32 v[10:11], v[64:65], v[68:69]
	v_add_f64_e32 v[12:13], v[47:48], v[64:65]
	ds_store_b128 v0, v[41:44]
	ds_store_b128 v0, v[54:57] offset:256
	v_fma_f64 v[8:9], v[8:9], -0.5, v[45:46]
	v_add_f64_e32 v[45:46], v[14:15], v[66:67]
	v_fma_f64 v[10:11], v[10:11], -0.5, v[47:48]
	v_add_f64_e32 v[47:48], v[12:13], v[68:69]
	v_add_f64_e64 v[12:13], v[62:63], -v[66:67]
	v_add_f64_e32 v[14:15], v[29:30], v[70:71]
	scratch_store_b32 off, v0, off offset:100 ; 4-byte Folded Spill
	ds_store_b128 v0, v[58:61] offset:512
	v_lshrrev_b32_e32 v0, 4, v136
	s_delay_alu instid0(VALU_DEP_1) | instskip(NEXT) | instid1(VALU_DEP_1)
	v_mul_u32_u24_e32 v0, 48, v0
	v_or_b32_e32 v0, v0, v2
	s_delay_alu instid0(VALU_DEP_1)
	v_lshlrev_b32_e32 v0, 4, v0
	v_fma_f64 v[62:63], v[16:17], s[10:11], v[8:9]
	v_fma_f64 v[66:67], v[16:17], s[14:15], v[8:9]
	v_add_f64_e32 v[8:9], v[70:71], v[74:75]
	v_add_f64_e64 v[16:17], v[72:73], -v[76:77]
	v_fma_f64 v[64:65], v[12:13], s[14:15], v[10:11]
	v_fma_f64 v[68:69], v[12:13], s[10:11], v[10:11]
	v_add_f64_e32 v[10:11], v[72:73], v[76:77]
	v_add_f64_e32 v[12:13], v[31:32], v[72:73]
	ds_store_b128 v0, v[45:48]
	ds_store_b128 v0, v[62:65] offset:256
	v_fma_f64 v[8:9], v[8:9], -0.5, v[29:30]
	v_add_f64_e32 v[29:30], v[14:15], v[74:75]
	v_fma_f64 v[10:11], v[10:11], -0.5, v[31:32]
	v_add_f64_e32 v[31:32], v[12:13], v[76:77]
	v_add_f64_e64 v[12:13], v[70:71], -v[74:75]
	scratch_store_b32 off, v0, off offset:96 ; 4-byte Folded Spill
	ds_store_b128 v0, v[66:69] offset:512
	v_lshrrev_b32_e32 v0, 4, v144
	s_delay_alu instid0(VALU_DEP_1) | instskip(NEXT) | instid1(VALU_DEP_1)
	v_mul_u32_u24_e32 v0, 48, v0
	v_or_b32_e32 v0, v0, v3
	s_delay_alu instid0(VALU_DEP_1)
	v_lshlrev_b32_e32 v0, 4, v0
	v_fma_f64 v[74:75], v[16:17], s[14:15], v[8:9]
	v_fma_f64 v[70:71], v[16:17], s[10:11], v[8:9]
	;; [unrolled: 1-line block ×4, first 2 shown]
	ds_store_b128 v0, v[29:32]
	ds_store_b128 v0, v[70:73] offset:256
	scratch_store_b32 off, v0, off offset:92 ; 4-byte Folded Spill
	ds_store_b128 v0, v[74:77] offset:512
	v_mul_u32_u24_e32 v0, 0xaaab, v1
	global_wb scope:SCOPE_SE
	s_wait_storecnt_dscnt 0x0
	s_barrier_signal -1
	s_barrier_wait -1
	global_inv scope:SCOPE_SE
	v_lshrrev_b32_e32 v0, 21, v0
	v_and_b32_e32 v75, 0xffff, v144
	s_delay_alu instid0(VALU_DEP_2) | instskip(NEXT) | instid1(VALU_DEP_1)
	v_mul_lo_u16 v2, v0, 48
	v_sub_nc_u16 v2, v242, v2
	s_delay_alu instid0(VALU_DEP_1) | instskip(SKIP_1) | instid1(VALU_DEP_2)
	v_lshlrev_b16 v3, 5, v2
	v_mad_u16 v0, 0x90, v0, v2
	v_and_b32_e32 v3, 0xffff, v3
	s_delay_alu instid0(VALU_DEP_2) | instskip(NEXT) | instid1(VALU_DEP_2)
	v_and_b32_e32 v0, 0xffff, v0
	v_add_co_u32 v8, s0, s2, v3
	s_wait_alu 0xf1ff
	v_add_co_ci_u32_e64 v9, null, s3, 0, s0
	s_clause 0x1
	global_load_b128 v[100:103], v[8:9], off offset:512
	global_load_b128 v[96:99], v[8:9], off offset:528
	ds_load_b128 v[24:27], v228 offset:20736
	ds_load_b128 v[28:31], v228 offset:15552
	v_and_b32_e32 v3, 0xffff, v52
	v_lshlrev_b32_e32 v0, 4, v0
	s_delay_alu instid0(VALU_DEP_2) | instskip(NEXT) | instid1(VALU_DEP_1)
	v_mul_u32_u24_e32 v4, 0xaaab, v3
	v_lshrrev_b32_e32 v4, 21, v4
	s_delay_alu instid0(VALU_DEP_1) | instskip(NEXT) | instid1(VALU_DEP_1)
	v_mul_lo_u16 v5, v4, 48
	v_sub_nc_u16 v5, v52, v5
	s_delay_alu instid0(VALU_DEP_1) | instskip(NEXT) | instid1(VALU_DEP_1)
	v_lshlrev_b16 v6, 5, v5
	v_and_b32_e32 v6, 0xffff, v6
	s_delay_alu instid0(VALU_DEP_1) | instskip(SKIP_3) | instid1(VALU_DEP_1)
	v_add_co_u32 v16, s0, s2, v6
	s_wait_alu 0xf1ff
	v_add_co_ci_u32_e64 v17, null, s3, 0, s0
	v_and_b32_e32 v6, 0xffff, v136
	v_mul_u32_u24_e32 v7, 0xaaab, v6
	s_delay_alu instid0(VALU_DEP_1) | instskip(SKIP_3) | instid1(VALU_DEP_2)
	v_lshrrev_b32_e32 v7, 21, v7
	s_wait_loadcnt_dscnt 0x101
	v_mul_f64_e32 v[8:9], v[26:27], v[102:103]
	v_mul_f64_e32 v[10:11], v[24:25], v[102:103]
	v_fma_f64 v[8:9], v[24:25], v[100:101], -v[8:9]
	s_delay_alu instid0(VALU_DEP_2)
	v_fma_f64 v[10:11], v[26:27], v[100:101], v[10:11]
	ds_load_b128 v[24:27], v228 offset:41472
	ds_load_b128 v[32:35], v228 offset:36288
	s_clause 0x1
	global_load_b128 v[116:119], v[16:17], off offset:512
	global_load_b128 v[112:115], v[16:17], off offset:528
	s_wait_loadcnt_dscnt 0x201
	v_mul_f64_e32 v[12:13], v[26:27], v[98:99]
	v_mul_f64_e32 v[14:15], v[24:25], v[98:99]
	s_delay_alu instid0(VALU_DEP_2) | instskip(NEXT) | instid1(VALU_DEP_2)
	v_fma_f64 v[12:13], v[24:25], v[96:97], -v[12:13]
	v_fma_f64 v[14:15], v[26:27], v[96:97], v[14:15]
	ds_load_b128 v[24:27], v228 offset:25920
	ds_load_b128 v[36:39], v228 offset:31104
	s_wait_loadcnt_dscnt 0x101
	v_mul_f64_e32 v[16:17], v[26:27], v[118:119]
	v_mul_f64_e32 v[18:19], v[24:25], v[118:119]
	s_delay_alu instid0(VALU_DEP_2) | instskip(NEXT) | instid1(VALU_DEP_2)
	v_fma_f64 v[16:17], v[24:25], v[116:117], -v[16:17]
	v_fma_f64 v[18:19], v[26:27], v[116:117], v[18:19]
	ds_load_b128 v[24:27], v228 offset:46656
	ds_load_b128 v[40:43], v228 offset:51840
	s_wait_loadcnt_dscnt 0x1
	v_mul_f64_e32 v[44:45], v[26:27], v[114:115]
	s_delay_alu instid0(VALU_DEP_1) | instskip(SKIP_1) | instid1(VALU_DEP_1)
	v_fma_f64 v[48:49], v[24:25], v[112:113], -v[44:45]
	v_mul_f64_e32 v[24:25], v[24:25], v[114:115]
	v_fma_f64 v[50:51], v[26:27], v[112:113], v[24:25]
	v_mul_lo_u16 v24, v7, 48
	s_delay_alu instid0(VALU_DEP_1) | instskip(NEXT) | instid1(VALU_DEP_1)
	v_sub_nc_u16 v74, v136, v24
	v_lshlrev_b16 v24, 5, v74
	s_delay_alu instid0(VALU_DEP_1) | instskip(NEXT) | instid1(VALU_DEP_1)
	v_and_b32_e32 v24, 0xffff, v24
	v_add_co_u32 v24, s0, s2, v24
	s_wait_alu 0xf1ff
	v_add_co_ci_u32_e64 v25, null, s3, 0, s0
	s_clause 0x1
	global_load_b128 v[124:127], v[24:25], off offset:512
	global_load_b128 v[120:123], v[24:25], off offset:528
	s_wait_loadcnt 0x1
	v_mul_f64_e32 v[24:25], v[38:39], v[126:127]
	s_delay_alu instid0(VALU_DEP_1) | instskip(SKIP_1) | instid1(VALU_DEP_1)
	v_fma_f64 v[58:59], v[36:37], v[124:125], -v[24:25]
	v_mul_f64_e32 v[24:25], v[36:37], v[126:127]
	v_fma_f64 v[60:61], v[38:39], v[124:125], v[24:25]
	s_wait_loadcnt_dscnt 0x0
	v_mul_f64_e32 v[24:25], v[42:43], v[122:123]
	s_delay_alu instid0(VALU_DEP_1) | instskip(SKIP_1) | instid1(VALU_DEP_1)
	v_fma_f64 v[62:63], v[40:41], v[120:121], -v[24:25]
	v_mul_f64_e32 v[24:25], v[40:41], v[122:123]
	v_fma_f64 v[64:65], v[42:43], v[120:121], v[24:25]
	v_mul_u32_u24_e32 v24, 0xaaab, v75
	s_delay_alu instid0(VALU_DEP_1) | instskip(NEXT) | instid1(VALU_DEP_1)
	v_lshrrev_b32_e32 v76, 21, v24
	v_mul_lo_u16 v24, v76, 48
	s_delay_alu instid0(VALU_DEP_1) | instskip(NEXT) | instid1(VALU_DEP_1)
	v_sub_nc_u16 v77, v144, v24
	v_lshlrev_b16 v24, 5, v77
	s_delay_alu instid0(VALU_DEP_1) | instskip(NEXT) | instid1(VALU_DEP_1)
	v_and_b32_e32 v24, 0xffff, v24
	v_add_co_u32 v24, s0, s2, v24
	s_wait_alu 0xf1ff
	v_add_co_ci_u32_e64 v25, null, s3, 0, s0
	s_clause 0x1
	global_load_b128 v[132:135], v[24:25], off offset:512
	global_load_b128 v[128:131], v[24:25], off offset:528
	s_wait_loadcnt 0x1
	v_mul_f64_e32 v[24:25], v[34:35], v[134:135]
	s_delay_alu instid0(VALU_DEP_1) | instskip(SKIP_1) | instid1(VALU_DEP_1)
	v_fma_f64 v[66:67], v[32:33], v[132:133], -v[24:25]
	v_mul_f64_e32 v[24:25], v[32:33], v[134:135]
	v_fma_f64 v[68:69], v[34:35], v[132:133], v[24:25]
	ds_load_b128 v[24:27], v228 offset:57024
	ds_load_b128 v[32:35], v228
	ds_load_b128 v[40:43], v228 offset:5184
	ds_load_b128 v[44:47], v228 offset:10368
	global_wb scope:SCOPE_SE
	s_wait_loadcnt_dscnt 0x0
	s_barrier_signal -1
	s_barrier_wait -1
	global_inv scope:SCOPE_SE
	v_mul_f64_e32 v[36:37], v[26:27], v[130:131]
	s_delay_alu instid0(VALU_DEP_1) | instskip(SKIP_1) | instid1(VALU_DEP_1)
	v_fma_f64 v[70:71], v[24:25], v[128:129], -v[36:37]
	v_mul_f64_e32 v[24:25], v[24:25], v[130:131]
	v_fma_f64 v[72:73], v[26:27], v[128:129], v[24:25]
	v_add_f64_e32 v[24:25], v[8:9], v[12:13]
	s_delay_alu instid0(VALU_DEP_1) | instskip(SKIP_3) | instid1(VALU_DEP_3)
	v_fma_f64 v[36:37], v[24:25], -0.5, v[32:33]
	v_add_f64_e32 v[24:25], v[10:11], v[14:15]
	v_add_f64_e32 v[32:33], v[32:33], v[8:9]
	v_add_f64_e64 v[8:9], v[8:9], -v[12:13]
	v_fma_f64 v[38:39], v[24:25], -0.5, v[34:35]
	v_add_f64_e32 v[24:25], v[34:35], v[10:11]
	v_add_f64_e64 v[10:11], v[10:11], -v[14:15]
	s_delay_alu instid0(VALU_DEP_3) | instskip(NEXT) | instid1(VALU_DEP_3)
	v_fma_f64 v[34:35], v[8:9], s[14:15], v[38:39]
	v_add_f64_e32 v[26:27], v[24:25], v[14:15]
	v_add_f64_e32 v[24:25], v[32:33], v[12:13]
	s_delay_alu instid0(VALU_DEP_4)
	v_fma_f64 v[32:33], v[10:11], s[10:11], v[36:37]
	v_fma_f64 v[36:37], v[10:11], s[14:15], v[36:37]
	;; [unrolled: 1-line block ×3, first 2 shown]
	v_add_f64_e32 v[8:9], v[16:17], v[48:49]
	v_add_f64_e32 v[10:11], v[18:19], v[50:51]
	;; [unrolled: 1-line block ×4, first 2 shown]
	v_add_f64_e64 v[18:19], v[18:19], -v[50:51]
	ds_store_b128 v0, v[24:27]
	ds_store_b128 v0, v[32:35] offset:768
	scratch_store_b32 off, v0, off offset:76 ; 4-byte Folded Spill
	ds_store_b128 v0, v[36:39] offset:1536
	v_fma_f64 v[8:9], v[8:9], -0.5, v[40:41]
	v_fma_f64 v[10:11], v[10:11], -0.5, v[42:43]
	v_add_f64_e32 v[42:43], v[12:13], v[50:51]
	v_add_f64_e64 v[12:13], v[16:17], -v[48:49]
	v_add_f64_e32 v[40:41], v[14:15], v[48:49]
	v_add_f64_e32 v[14:15], v[44:45], v[58:59]
	v_add_f64_e64 v[16:17], v[60:61], -v[64:65]
	v_mad_u16 v0, 0x90, v4, v5
	s_delay_alu instid0(VALU_DEP_1) | instskip(NEXT) | instid1(VALU_DEP_1)
	v_and_b32_e32 v0, 0xffff, v0
	v_lshlrev_b32_e32 v0, 4, v0
	v_fma_f64 v[48:49], v[18:19], s[10:11], v[8:9]
	v_fma_f64 v[54:55], v[18:19], s[14:15], v[8:9]
	v_add_f64_e32 v[8:9], v[58:59], v[62:63]
	v_fma_f64 v[50:51], v[12:13], s[14:15], v[10:11]
	v_fma_f64 v[56:57], v[12:13], s[10:11], v[10:11]
	v_add_f64_e32 v[10:11], v[60:61], v[64:65]
	v_add_f64_e32 v[12:13], v[46:47], v[60:61]
	ds_store_b128 v0, v[40:43]
	ds_store_b128 v0, v[48:51] offset:768
	v_fma_f64 v[8:9], v[8:9], -0.5, v[44:45]
	v_add_f64_e32 v[44:45], v[14:15], v[62:63]
	v_fma_f64 v[10:11], v[10:11], -0.5, v[46:47]
	v_add_f64_e32 v[46:47], v[12:13], v[64:65]
	v_add_f64_e64 v[12:13], v[58:59], -v[62:63]
	v_add_f64_e32 v[14:15], v[28:29], v[66:67]
	scratch_store_b32 off, v0, off offset:72 ; 4-byte Folded Spill
	ds_store_b128 v0, v[54:57] offset:1536
	v_mad_u16 v0, 0x90, v7, v74
	s_delay_alu instid0(VALU_DEP_1) | instskip(NEXT) | instid1(VALU_DEP_1)
	v_and_b32_e32 v0, 0xffff, v0
	v_lshlrev_b32_e32 v0, 4, v0
	v_fma_f64 v[58:59], v[16:17], s[10:11], v[8:9]
	v_fma_f64 v[62:63], v[16:17], s[14:15], v[8:9]
	v_add_f64_e32 v[8:9], v[66:67], v[70:71]
	v_add_f64_e64 v[16:17], v[68:69], -v[72:73]
	v_fma_f64 v[60:61], v[12:13], s[14:15], v[10:11]
	v_fma_f64 v[64:65], v[12:13], s[10:11], v[10:11]
	v_add_f64_e32 v[10:11], v[68:69], v[72:73]
	v_add_f64_e32 v[12:13], v[30:31], v[68:69]
	ds_store_b128 v0, v[44:47]
	ds_store_b128 v0, v[58:61] offset:768
	v_fma_f64 v[8:9], v[8:9], -0.5, v[28:29]
	v_add_f64_e32 v[28:29], v[14:15], v[70:71]
	v_fma_f64 v[10:11], v[10:11], -0.5, v[30:31]
	v_add_f64_e32 v[30:31], v[12:13], v[72:73]
	v_add_f64_e64 v[12:13], v[66:67], -v[70:71]
	scratch_store_b32 off, v0, off offset:68 ; 4-byte Folded Spill
	ds_store_b128 v0, v[62:65] offset:1536
	v_mad_u16 v0, 0x90, v76, v77
	s_delay_alu instid0(VALU_DEP_1) | instskip(NEXT) | instid1(VALU_DEP_1)
	v_and_b32_e32 v0, 0xffff, v0
	v_lshlrev_b32_e32 v0, 4, v0
	v_fma_f64 v[70:71], v[16:17], s[14:15], v[8:9]
	v_fma_f64 v[66:67], v[16:17], s[10:11], v[8:9]
	;; [unrolled: 1-line block ×4, first 2 shown]
	ds_store_b128 v0, v[28:31]
	ds_store_b128 v0, v[66:69] offset:768
	scratch_store_b32 off, v0, off offset:64 ; 4-byte Folded Spill
	ds_store_b128 v0, v[70:73] offset:1536
	v_mul_u32_u24_e32 v0, 0xe38f, v1
	global_wb scope:SCOPE_SE
	s_wait_storecnt_dscnt 0x0
	s_barrier_signal -1
	s_barrier_wait -1
	global_inv scope:SCOPE_SE
	v_lshrrev_b32_e32 v0, 23, v0
	s_delay_alu instid0(VALU_DEP_1) | instskip(NEXT) | instid1(VALU_DEP_1)
	v_mul_lo_u16 v1, 0x90, v0
	v_sub_nc_u16 v1, v242, v1
	s_delay_alu instid0(VALU_DEP_1) | instskip(SKIP_1) | instid1(VALU_DEP_2)
	v_lshlrev_b16 v2, 5, v1
	v_mad_u16 v0, 0x1b0, v0, v1
	v_and_b32_e32 v2, 0xffff, v2
	s_delay_alu instid0(VALU_DEP_2) | instskip(NEXT) | instid1(VALU_DEP_2)
	v_and_b32_e32 v0, 0xffff, v0
	v_add_co_u32 v8, s0, s2, v2
	s_wait_alu 0xf1ff
	v_add_co_ci_u32_e64 v9, null, s3, 0, s0
	s_clause 0x1
	global_load_b128 v[36:39], v[8:9], off offset:2048
	global_load_b128 v[32:35], v[8:9], off offset:2064
	ds_load_b128 v[24:27], v228 offset:20736
	ds_load_b128 v[28:31], v228 offset:15552
	v_mul_u32_u24_e32 v2, 0xe38f, v3
	v_lshlrev_b32_e32 v0, 4, v0
	s_delay_alu instid0(VALU_DEP_2) | instskip(NEXT) | instid1(VALU_DEP_1)
	v_lshrrev_b32_e32 v2, 23, v2
	v_mul_lo_u16 v3, 0x90, v2
	s_delay_alu instid0(VALU_DEP_1) | instskip(NEXT) | instid1(VALU_DEP_1)
	v_sub_nc_u16 v3, v52, v3
	v_lshlrev_b16 v4, 5, v3
	s_delay_alu instid0(VALU_DEP_1) | instskip(NEXT) | instid1(VALU_DEP_1)
	v_and_b32_e32 v4, 0xffff, v4
	v_add_co_u32 v16, s0, s2, v4
	s_wait_alu 0xf1ff
	v_add_co_ci_u32_e64 v17, null, s3, 0, s0
	v_mul_u32_u24_e32 v4, 0xe38f, v6
	s_delay_alu instid0(VALU_DEP_1) | instskip(NEXT) | instid1(VALU_DEP_1)
	v_lshrrev_b32_e32 v4, 23, v4
	v_mul_lo_u16 v5, 0x90, v4
	s_delay_alu instid0(VALU_DEP_1) | instskip(NEXT) | instid1(VALU_DEP_1)
	v_sub_nc_u16 v5, v136, v5
	v_lshlrev_b16 v6, 5, v5
	s_delay_alu instid0(VALU_DEP_1) | instskip(SKIP_3) | instid1(VALU_DEP_2)
	v_and_b32_e32 v6, 0xffff, v6
	s_wait_loadcnt_dscnt 0x101
	v_mul_f64_e32 v[8:9], v[26:27], v[38:39]
	v_mul_f64_e32 v[10:11], v[24:25], v[38:39]
	v_fma_f64 v[8:9], v[24:25], v[36:37], -v[8:9]
	s_delay_alu instid0(VALU_DEP_2)
	v_fma_f64 v[10:11], v[26:27], v[36:37], v[10:11]
	ds_load_b128 v[24:27], v228 offset:41472
	ds_load_b128 v[60:63], v228 offset:36288
	s_clause 0x1
	global_load_b128 v[44:47], v[16:17], off offset:2048
	global_load_b128 v[40:43], v[16:17], off offset:2064
	s_wait_loadcnt_dscnt 0x201
	v_mul_f64_e32 v[12:13], v[26:27], v[34:35]
	v_mul_f64_e32 v[14:15], v[24:25], v[34:35]
	s_delay_alu instid0(VALU_DEP_2) | instskip(NEXT) | instid1(VALU_DEP_2)
	v_fma_f64 v[12:13], v[24:25], v[32:33], -v[12:13]
	v_fma_f64 v[14:15], v[26:27], v[32:33], v[14:15]
	ds_load_b128 v[24:27], v228 offset:25920
	ds_load_b128 v[64:67], v228 offset:31104
	s_wait_loadcnt_dscnt 0x101
	v_mul_f64_e32 v[16:17], v[26:27], v[46:47]
	v_mul_f64_e32 v[18:19], v[24:25], v[46:47]
	s_delay_alu instid0(VALU_DEP_2) | instskip(NEXT) | instid1(VALU_DEP_2)
	v_fma_f64 v[16:17], v[24:25], v[44:45], -v[16:17]
	v_fma_f64 v[18:19], v[26:27], v[44:45], v[18:19]
	ds_load_b128 v[24:27], v228 offset:46656
	ds_load_b128 v[68:71], v228 offset:51840
	s_wait_loadcnt_dscnt 0x1
	v_mul_f64_e32 v[48:49], v[26:27], v[42:43]
	s_delay_alu instid0(VALU_DEP_1) | instskip(SKIP_1) | instid1(VALU_DEP_1)
	v_fma_f64 v[54:55], v[24:25], v[40:41], -v[48:49]
	v_mul_f64_e32 v[24:25], v[24:25], v[42:43]
	v_fma_f64 v[84:85], v[26:27], v[40:41], v[24:25]
	v_add_co_u32 v24, s0, s2, v6
	s_wait_alu 0xf1ff
	v_add_co_ci_u32_e64 v25, null, s3, 0, s0
	s_clause 0x1
	global_load_b128 v[56:59], v[24:25], off offset:2048
	global_load_b128 v[48:51], v[24:25], off offset:2064
	v_mul_u32_u24_e32 v6, 0xe38f, v75
	s_delay_alu instid0(VALU_DEP_1) | instskip(NEXT) | instid1(VALU_DEP_1)
	v_lshrrev_b32_e32 v6, 23, v6
	v_mul_lo_u16 v7, 0x90, v6
	s_delay_alu instid0(VALU_DEP_1) | instskip(SKIP_2) | instid1(VALU_DEP_1)
	v_sub_nc_u16 v7, v144, v7
	s_wait_loadcnt 0x1
	v_mul_f64_e32 v[24:25], v[66:67], v[58:59]
	v_fma_f64 v[92:93], v[64:65], v[56:57], -v[24:25]
	v_mul_f64_e32 v[24:25], v[64:65], v[58:59]
	s_delay_alu instid0(VALU_DEP_1) | instskip(SKIP_2) | instid1(VALU_DEP_1)
	v_fma_f64 v[94:95], v[66:67], v[56:57], v[24:25]
	s_wait_loadcnt_dscnt 0x0
	v_mul_f64_e32 v[24:25], v[70:71], v[50:51]
	v_fma_f64 v[104:105], v[68:69], v[48:49], -v[24:25]
	v_mul_f64_e32 v[24:25], v[68:69], v[50:51]
	s_delay_alu instid0(VALU_DEP_1) | instskip(SKIP_1) | instid1(VALU_DEP_1)
	v_fma_f64 v[106:107], v[70:71], v[48:49], v[24:25]
	v_lshlrev_b16 v24, 5, v7
	v_and_b32_e32 v24, 0xffff, v24
	s_delay_alu instid0(VALU_DEP_1)
	v_add_co_u32 v24, s0, s2, v24
	s_wait_alu 0xf1ff
	v_add_co_ci_u32_e64 v25, null, s3, 0, s0
	s_clause 0x1
	global_load_b128 v[72:75], v[24:25], off offset:2048
	global_load_b128 v[68:71], v[24:25], off offset:2064
	s_wait_loadcnt 0x1
	v_mul_f64_e32 v[24:25], v[62:63], v[74:75]
	s_delay_alu instid0(VALU_DEP_1) | instskip(SKIP_1) | instid1(VALU_DEP_1)
	v_fma_f64 v[108:109], v[60:61], v[72:73], -v[24:25]
	v_mul_f64_e32 v[24:25], v[60:61], v[74:75]
	v_fma_f64 v[110:111], v[62:63], v[72:73], v[24:25]
	ds_load_b128 v[24:27], v228 offset:57024
	ds_load_b128 v[60:63], v228
	ds_load_b128 v[76:79], v228 offset:5184
	ds_load_b128 v[80:83], v228 offset:10368
	global_wb scope:SCOPE_SE
	s_wait_loadcnt_dscnt 0x0
	s_barrier_signal -1
	s_barrier_wait -1
	global_inv scope:SCOPE_SE
	v_mul_f64_e32 v[64:65], v[26:27], v[70:71]
	s_delay_alu instid0(VALU_DEP_1) | instskip(SKIP_1) | instid1(VALU_DEP_1)
	v_fma_f64 v[137:138], v[24:25], v[68:69], -v[64:65]
	v_mul_f64_e32 v[24:25], v[24:25], v[70:71]
	v_fma_f64 v[139:140], v[26:27], v[68:69], v[24:25]
	v_add_f64_e32 v[24:25], v[8:9], v[12:13]
	s_delay_alu instid0(VALU_DEP_1) | instskip(SKIP_3) | instid1(VALU_DEP_3)
	v_fma_f64 v[64:65], v[24:25], -0.5, v[60:61]
	v_add_f64_e32 v[24:25], v[10:11], v[14:15]
	v_add_f64_e32 v[60:61], v[60:61], v[8:9]
	v_add_f64_e64 v[8:9], v[8:9], -v[12:13]
	v_fma_f64 v[66:67], v[24:25], -0.5, v[62:63]
	v_add_f64_e32 v[24:25], v[62:63], v[10:11]
	v_add_f64_e64 v[10:11], v[10:11], -v[14:15]
	s_delay_alu instid0(VALU_DEP_3) | instskip(NEXT) | instid1(VALU_DEP_3)
	v_fma_f64 v[62:63], v[8:9], s[14:15], v[66:67]
	v_add_f64_e32 v[26:27], v[24:25], v[14:15]
	v_add_f64_e32 v[24:25], v[60:61], v[12:13]
	s_delay_alu instid0(VALU_DEP_4)
	v_fma_f64 v[60:61], v[10:11], s[10:11], v[64:65]
	v_fma_f64 v[64:65], v[10:11], s[14:15], v[64:65]
	;; [unrolled: 1-line block ×3, first 2 shown]
	v_add_f64_e32 v[8:9], v[16:17], v[54:55]
	v_add_f64_e32 v[10:11], v[18:19], v[84:85]
	;; [unrolled: 1-line block ×3, first 2 shown]
	v_add_f64_e64 v[18:19], v[18:19], -v[84:85]
	v_add_f64_e32 v[14:15], v[76:77], v[16:17]
	ds_store_b128 v0, v[24:27]
	ds_store_b128 v0, v[60:63] offset:2304
	scratch_store_b32 off, v0, off offset:60 ; 4-byte Folded Spill
	ds_store_b128 v0, v[64:67] offset:4608
	v_fma_f64 v[8:9], v[8:9], -0.5, v[76:77]
	v_fma_f64 v[10:11], v[10:11], -0.5, v[78:79]
	v_add_f64_e32 v[78:79], v[12:13], v[84:85]
	v_add_f64_e64 v[12:13], v[16:17], -v[54:55]
	v_add_f64_e32 v[76:77], v[14:15], v[54:55]
	v_add_f64_e32 v[14:15], v[80:81], v[92:93]
	v_add_f64_e64 v[16:17], v[94:95], -v[106:107]
	v_mad_u16 v0, 0x1b0, v2, v3
	s_delay_alu instid0(VALU_DEP_1) | instskip(NEXT) | instid1(VALU_DEP_1)
	v_and_b32_e32 v0, 0xffff, v0
	v_lshlrev_b32_e32 v0, 4, v0
	v_fma_f64 v[84:85], v[18:19], s[10:11], v[8:9]
	v_fma_f64 v[88:89], v[18:19], s[14:15], v[8:9]
	v_add_f64_e32 v[8:9], v[92:93], v[104:105]
	v_fma_f64 v[86:87], v[12:13], s[14:15], v[10:11]
	v_fma_f64 v[90:91], v[12:13], s[10:11], v[10:11]
	v_add_f64_e32 v[10:11], v[94:95], v[106:107]
	v_add_f64_e32 v[12:13], v[82:83], v[94:95]
	ds_store_b128 v0, v[76:79]
	ds_store_b128 v0, v[84:87] offset:2304
	v_fma_f64 v[8:9], v[8:9], -0.5, v[80:81]
	v_add_f64_e32 v[80:81], v[14:15], v[104:105]
	v_fma_f64 v[10:11], v[10:11], -0.5, v[82:83]
	v_add_f64_e32 v[82:83], v[12:13], v[106:107]
	v_add_f64_e64 v[12:13], v[92:93], -v[104:105]
	v_add_f64_e32 v[14:15], v[28:29], v[108:109]
	scratch_store_b32 off, v0, off offset:56 ; 4-byte Folded Spill
	ds_store_b128 v0, v[88:91] offset:4608
	v_mad_u16 v0, 0x1b0, v4, v5
	s_delay_alu instid0(VALU_DEP_1) | instskip(NEXT) | instid1(VALU_DEP_1)
	v_and_b32_e32 v0, 0xffff, v0
	v_lshlrev_b32_e32 v0, 4, v0
	v_fma_f64 v[92:93], v[16:17], s[10:11], v[8:9]
	v_fma_f64 v[104:105], v[16:17], s[14:15], v[8:9]
	v_add_f64_e32 v[8:9], v[108:109], v[137:138]
	v_add_f64_e64 v[16:17], v[110:111], -v[139:140]
	v_fma_f64 v[94:95], v[12:13], s[14:15], v[10:11]
	v_fma_f64 v[106:107], v[12:13], s[10:11], v[10:11]
	v_add_f64_e32 v[10:11], v[110:111], v[139:140]
	v_add_f64_e32 v[12:13], v[30:31], v[110:111]
	ds_store_b128 v0, v[80:83]
	ds_store_b128 v0, v[92:95] offset:2304
	v_fma_f64 v[8:9], v[8:9], -0.5, v[28:29]
	v_add_f64_e32 v[28:29], v[14:15], v[137:138]
	v_fma_f64 v[10:11], v[10:11], -0.5, v[30:31]
	v_add_f64_e32 v[30:31], v[12:13], v[139:140]
	v_add_f64_e64 v[12:13], v[108:109], -v[137:138]
	scratch_store_b32 off, v0, off offset:52 ; 4-byte Folded Spill
	ds_store_b128 v0, v[104:107] offset:4608
	v_mad_u16 v0, 0x1b0, v6, v7
	v_lshlrev_b32_e32 v104, 5, v242
	s_delay_alu instid0(VALU_DEP_2) | instskip(NEXT) | instid1(VALU_DEP_1)
	v_and_b32_e32 v0, 0xffff, v0
	v_lshlrev_b32_e32 v0, 4, v0
	v_fma_f64 v[137:138], v[16:17], s[14:15], v[8:9]
	v_fma_f64 v[108:109], v[16:17], s[10:11], v[8:9]
	;; [unrolled: 1-line block ×4, first 2 shown]
	ds_store_b128 v0, v[28:31]
	ds_store_b128 v0, v[108:111] offset:2304
	scratch_store_b32 off, v0, off offset:48 ; 4-byte Folded Spill
	ds_store_b128 v0, v[137:140] offset:4608
	global_wb scope:SCOPE_SE
	s_wait_storecnt_dscnt 0x0
	s_barrier_signal -1
	s_barrier_wait -1
	global_inv scope:SCOPE_SE
	s_clause 0x1
	global_load_b128 v[28:31], v104, s[2:3] offset:6656
	global_load_b128 v[0:3], v104, s[2:3] offset:6672
	ds_load_b128 v[60:63], v228 offset:20736
	ds_load_b128 v[92:95], v228 offset:15552
	s_wait_loadcnt_dscnt 0x101
	v_mul_f64_e32 v[8:9], v[62:63], v[30:31]
	v_mul_f64_e32 v[10:11], v[60:61], v[30:31]
	s_delay_alu instid0(VALU_DEP_2) | instskip(NEXT) | instid1(VALU_DEP_2)
	v_fma_f64 v[8:9], v[60:61], v[28:29], -v[8:9]
	v_fma_f64 v[10:11], v[62:63], v[28:29], v[10:11]
	ds_load_b128 v[60:63], v228 offset:41472
	ds_load_b128 v[105:108], v228 offset:36288
	s_wait_loadcnt 0x0
	scratch_store_b128 off, v[0:3], off offset:32 ; 16-byte Folded Spill
	s_wait_dscnt 0x1
	v_mul_f64_e32 v[12:13], v[62:63], v[2:3]
	v_mul_f64_e32 v[14:15], v[60:61], v[2:3]
	s_delay_alu instid0(VALU_DEP_2) | instskip(NEXT) | instid1(VALU_DEP_2)
	v_fma_f64 v[12:13], v[60:61], v[0:1], -v[12:13]
	v_fma_f64 v[14:15], v[62:63], v[0:1], v[14:15]
	v_add_co_u32 v0, s0, 0xffffff94, v242
	s_wait_alu 0xf1ff
	v_add_co_ci_u32_e64 v1, null, 0, -1, s0
	v_cmp_gt_u16_e64 s0, 0x6c, v242
	s_wait_alu 0xf1ff
	s_delay_alu instid0(VALU_DEP_1) | instskip(SKIP_2) | instid1(VALU_DEP_2)
	v_cndmask_b32_e64 v17, v1, v53, s0
	v_cndmask_b32_e64 v16, v0, v52, s0
	v_lshrrev_b16 v0, 4, v136
	v_lshlrev_b64_e32 v[17:18], 5, v[16:17]
	s_delay_alu instid0(VALU_DEP_2) | instskip(NEXT) | instid1(VALU_DEP_2)
	v_and_b32_e32 v0, 0xffff, v0
	v_add_co_u32 v17, s0, s2, v17
	s_wait_alu 0xf1ff
	s_delay_alu instid0(VALU_DEP_3)
	v_add_co_ci_u32_e64 v18, s0, s3, v18, s0
	s_clause 0x1
	global_load_b128 v[64:67], v[17:18], off offset:6656
	global_load_b128 v[60:63], v[17:18], off offset:6672
	ds_load_b128 v[76:79], v228 offset:25920
	ds_load_b128 v[84:87], v228 offset:31104
	v_mul_u32_u24_e32 v0, 0x12f7, v0
	s_delay_alu instid0(VALU_DEP_1) | instskip(NEXT) | instid1(VALU_DEP_1)
	v_lshrrev_b32_e32 v0, 17, v0
	v_mul_lo_u16 v1, 0x1b0, v0
	s_delay_alu instid0(VALU_DEP_1) | instskip(NEXT) | instid1(VALU_DEP_1)
	v_sub_nc_u16 v1, v136, v1
	v_lshlrev_b16 v2, 5, v1
	v_mad_u16 v0, 0x510, v0, v1
	s_delay_alu instid0(VALU_DEP_2) | instskip(NEXT) | instid1(VALU_DEP_2)
	v_and_b32_e32 v2, 0xffff, v2
	v_and_b32_e32 v0, 0xffff, v0
	s_delay_alu instid0(VALU_DEP_1) | instskip(SKIP_3) | instid1(VALU_DEP_2)
	v_lshlrev_b32_e32 v0, 4, v0
	s_wait_loadcnt_dscnt 0x101
	v_mul_f64_e32 v[17:18], v[78:79], v[66:67]
	v_mul_f64_e32 v[53:54], v[76:77], v[66:67]
	v_fma_f64 v[17:18], v[76:77], v[64:65], -v[17:18]
	s_delay_alu instid0(VALU_DEP_2) | instskip(SKIP_4) | instid1(VALU_DEP_1)
	v_fma_f64 v[53:54], v[78:79], v[64:65], v[53:54]
	ds_load_b128 v[76:79], v228 offset:46656
	ds_load_b128 v[88:91], v228 offset:51840
	s_wait_loadcnt_dscnt 0x1
	v_mul_f64_e32 v[80:81], v[78:79], v[62:63]
	v_fma_f64 v[109:110], v[76:77], v[60:61], -v[80:81]
	v_mul_f64_e32 v[76:77], v[76:77], v[62:63]
	s_delay_alu instid0(VALU_DEP_1)
	v_fma_f64 v[141:142], v[78:79], v[60:61], v[76:77]
	v_add_co_u32 v76, s0, s2, v2
	s_wait_alu 0xf1ff
	v_add_co_ci_u32_e64 v77, null, s3, 0, s0
	s_clause 0x1
	global_load_b128 v[80:83], v[76:77], off offset:6656
	global_load_b128 v[76:79], v[76:77], off offset:6672
	v_lshrrev_b16 v2, 4, v144
	s_delay_alu instid0(VALU_DEP_1) | instskip(NEXT) | instid1(VALU_DEP_1)
	v_and_b32_e32 v2, 0xffff, v2
	v_mul_u32_u24_e32 v2, 0x12f7, v2
	s_delay_alu instid0(VALU_DEP_1) | instskip(NEXT) | instid1(VALU_DEP_1)
	v_lshrrev_b32_e32 v2, 17, v2
	v_mul_lo_u16 v2, 0x1b0, v2
	s_delay_alu instid0(VALU_DEP_1) | instskip(NEXT) | instid1(VALU_DEP_1)
	v_sub_nc_u16 v2, v144, v2
	v_lshlrev_b16 v3, 5, v2
	s_delay_alu instid0(VALU_DEP_1) | instskip(SKIP_2) | instid1(VALU_DEP_1)
	v_and_b32_e32 v3, 0xffff, v3
	s_wait_loadcnt 0x1
	v_mul_f64_e32 v[137:138], v[86:87], v[82:83]
	v_fma_f64 v[149:150], v[84:85], v[80:81], -v[137:138]
	v_mul_f64_e32 v[84:85], v[84:85], v[82:83]
	s_delay_alu instid0(VALU_DEP_1) | instskip(SKIP_2) | instid1(VALU_DEP_1)
	v_fma_f64 v[192:193], v[86:87], v[80:81], v[84:85]
	s_wait_loadcnt_dscnt 0x0
	v_mul_f64_e32 v[84:85], v[90:91], v[78:79]
	v_fma_f64 v[194:195], v[88:89], v[76:77], -v[84:85]
	v_mul_f64_e32 v[84:85], v[88:89], v[78:79]
	s_delay_alu instid0(VALU_DEP_1)
	v_fma_f64 v[196:197], v[90:91], v[76:77], v[84:85]
	v_add_co_u32 v84, s0, s2, v3
	s_wait_alu 0xf1ff
	v_add_co_ci_u32_e64 v85, null, s3, 0, s0
	s_clause 0x1
	global_load_b128 v[88:91], v[84:85], off offset:6656
	global_load_b128 v[84:87], v[84:85], off offset:6672
	v_cmp_lt_u16_e64 s0, 0x6b, v242
	s_wait_alu 0xf1ff
	s_delay_alu instid0(VALU_DEP_1) | instskip(NEXT) | instid1(VALU_DEP_1)
	v_cndmask_b32_e64 v3, 0, 0x510, s0
	v_add_lshl_u32 v3, v16, v3, 4
	s_wait_loadcnt 0x1
	v_mul_f64_e32 v[137:138], v[107:108], v[90:91]
	s_delay_alu instid0(VALU_DEP_1) | instskip(SKIP_1) | instid1(VALU_DEP_1)
	v_fma_f64 v[200:201], v[105:106], v[88:89], -v[137:138]
	v_mul_f64_e32 v[105:106], v[105:106], v[90:91]
	v_fma_f64 v[202:203], v[107:108], v[88:89], v[105:106]
	ds_load_b128 v[105:108], v228 offset:57024
	ds_load_b128 v[137:140], v228
	ds_load_b128 v[176:179], v228 offset:5184
	ds_load_b128 v[180:183], v228 offset:10368
	global_wb scope:SCOPE_SE
	s_wait_storecnt 0x0
	s_wait_loadcnt_dscnt 0x0
	s_barrier_signal -1
	s_barrier_wait -1
	global_inv scope:SCOPE_SE
	v_mul_f64_e32 v[145:146], v[107:108], v[86:87]
	s_delay_alu instid0(VALU_DEP_1) | instskip(SKIP_1) | instid1(VALU_DEP_1)
	v_fma_f64 v[204:205], v[105:106], v[84:85], -v[145:146]
	v_mul_f64_e32 v[105:106], v[105:106], v[86:87]
	v_fma_f64 v[206:207], v[107:108], v[84:85], v[105:106]
	v_add_f64_e32 v[105:106], v[8:9], v[12:13]
	s_delay_alu instid0(VALU_DEP_1) | instskip(SKIP_3) | instid1(VALU_DEP_3)
	v_fma_f64 v[145:146], v[105:106], -0.5, v[137:138]
	v_add_f64_e32 v[105:106], v[10:11], v[14:15]
	v_add_f64_e32 v[137:138], v[137:138], v[8:9]
	v_add_f64_e64 v[8:9], v[8:9], -v[12:13]
	v_fma_f64 v[147:148], v[105:106], -0.5, v[139:140]
	v_add_f64_e32 v[105:106], v[139:140], v[10:11]
	v_add_f64_e64 v[10:11], v[10:11], -v[14:15]
	s_delay_alu instid0(VALU_DEP_3) | instskip(NEXT) | instid1(VALU_DEP_3)
	v_fma_f64 v[139:140], v[8:9], s[14:15], v[147:148]
	v_add_f64_e32 v[107:108], v[105:106], v[14:15]
	v_add_f64_e32 v[105:106], v[137:138], v[12:13]
	s_delay_alu instid0(VALU_DEP_4)
	v_fma_f64 v[137:138], v[10:11], s[10:11], v[145:146]
	v_fma_f64 v[145:146], v[10:11], s[14:15], v[145:146]
	;; [unrolled: 1-line block ×3, first 2 shown]
	v_add_f64_e32 v[8:9], v[17:18], v[109:110]
	v_add_f64_e32 v[10:11], v[53:54], v[141:142]
	;; [unrolled: 1-line block ×3, first 2 shown]
	v_add_f64_e64 v[53:54], v[53:54], -v[141:142]
	v_add_f64_e32 v[14:15], v[176:177], v[17:18]
	ds_store_b128 v228, v[105:108]
	ds_store_b128 v228, v[137:140] offset:6912
	ds_store_b128 v228, v[145:148] offset:13824
	v_fma_f64 v[8:9], v[8:9], -0.5, v[176:177]
	v_fma_f64 v[10:11], v[10:11], -0.5, v[178:179]
	v_add_f64_e32 v[178:179], v[12:13], v[141:142]
	v_add_f64_e64 v[12:13], v[17:18], -v[109:110]
	v_add_f64_e32 v[176:177], v[14:15], v[109:110]
	v_add_f64_e32 v[14:15], v[180:181], v[149:150]
	v_add_f64_e64 v[17:18], v[192:193], -v[196:197]
	v_fma_f64 v[184:185], v[53:54], s[10:11], v[8:9]
	v_fma_f64 v[188:189], v[53:54], s[14:15], v[8:9]
	v_add_f64_e32 v[8:9], v[149:150], v[194:195]
	v_fma_f64 v[186:187], v[12:13], s[14:15], v[10:11]
	v_fma_f64 v[190:191], v[12:13], s[10:11], v[10:11]
	v_add_f64_e32 v[10:11], v[192:193], v[196:197]
	v_add_f64_e32 v[12:13], v[182:183], v[192:193]
	ds_store_b128 v3, v[176:179]
	ds_store_b128 v3, v[184:187] offset:6912
	v_fma_f64 v[8:9], v[8:9], -0.5, v[180:181]
	v_add_f64_e32 v[180:181], v[14:15], v[194:195]
	v_fma_f64 v[10:11], v[10:11], -0.5, v[182:183]
	v_add_f64_e32 v[182:183], v[12:13], v[196:197]
	v_add_f64_e64 v[12:13], v[149:150], -v[194:195]
	v_add_f64_e32 v[14:15], v[92:93], v[200:201]
	scratch_store_b32 off, v3, off offset:88 ; 4-byte Folded Spill
	ds_store_b128 v3, v[188:191] offset:13824
	v_fma_f64 v[192:193], v[17:18], s[10:11], v[8:9]
	v_fma_f64 v[196:197], v[17:18], s[14:15], v[8:9]
	v_add_f64_e32 v[8:9], v[200:201], v[204:205]
	v_add_f64_e64 v[17:18], v[202:203], -v[206:207]
	v_fma_f64 v[194:195], v[12:13], s[14:15], v[10:11]
	v_fma_f64 v[198:199], v[12:13], s[10:11], v[10:11]
	v_add_f64_e32 v[10:11], v[202:203], v[206:207]
	v_add_f64_e32 v[12:13], v[94:95], v[202:203]
	ds_store_b128 v0, v[180:183]
	ds_store_b128 v0, v[192:195] offset:6912
	v_fma_f64 v[8:9], v[8:9], -0.5, v[92:93]
	v_add_f64_e32 v[92:93], v[14:15], v[204:205]
	v_fma_f64 v[10:11], v[10:11], -0.5, v[94:95]
	v_add_f64_e32 v[94:95], v[12:13], v[206:207]
	v_add_f64_e64 v[12:13], v[200:201], -v[204:205]
	scratch_store_b32 off, v0, off offset:84 ; 4-byte Folded Spill
	ds_store_b128 v0, v[196:199] offset:13824
	v_and_b32_e32 v0, 0xffff, v2
	s_delay_alu instid0(VALU_DEP_1)
	v_lshlrev_b32_e32 v0, 4, v0
	v_fma_f64 v[204:205], v[17:18], s[14:15], v[8:9]
	v_fma_f64 v[200:201], v[17:18], s[10:11], v[8:9]
	;; [unrolled: 1-line block ×4, first 2 shown]
	ds_store_b128 v0, v[92:95] offset:41472
	ds_store_b128 v0, v[200:203] offset:48384
	scratch_store_b32 off, v0, off offset:80 ; 4-byte Folded Spill
	ds_store_b128 v0, v[204:207] offset:55296
	v_lshlrev_b32_e32 v0, 5, v52
	global_wb scope:SCOPE_SE
	s_wait_storecnt_dscnt 0x0
	s_barrier_signal -1
	s_barrier_wait -1
	global_inv scope:SCOPE_SE
	s_clause 0x1
	global_load_b128 v[52:55], v0, s[2:3] offset:20480
	global_load_b128 v[92:95], v0, s[2:3] offset:20496
	ds_load_b128 v[105:108], v228 offset:25920
	ds_load_b128 v[145:148], v228 offset:31104
	v_lshlrev_b32_e32 v0, 5, v136
	s_wait_loadcnt_dscnt 0x101
	v_mul_f64_e32 v[8:9], v[107:108], v[54:55]
	v_mul_f64_e32 v[10:11], v[105:106], v[54:55]
	s_delay_alu instid0(VALU_DEP_2) | instskip(NEXT) | instid1(VALU_DEP_2)
	v_fma_f64 v[8:9], v[105:106], v[52:53], -v[8:9]
	v_fma_f64 v[10:11], v[107:108], v[52:53], v[10:11]
	ds_load_b128 v[105:108], v228 offset:46656
	ds_load_b128 v[176:179], v228 offset:51840
	s_wait_loadcnt_dscnt 0x1
	v_mul_f64_e32 v[12:13], v[107:108], v[94:95]
	v_mul_f64_e32 v[14:15], v[105:106], v[94:95]
	s_delay_alu instid0(VALU_DEP_2) | instskip(NEXT) | instid1(VALU_DEP_2)
	v_fma_f64 v[12:13], v[105:106], v[92:93], -v[12:13]
	v_fma_f64 v[14:15], v[107:108], v[92:93], v[14:15]
	s_clause 0x1
	global_load_b128 v[108:111], v104, s[2:3] offset:20480
	global_load_b128 v[104:107], v104, s[2:3] offset:20496
	ds_load_b128 v[137:140], v228 offset:20736
	ds_load_b128 v[212:215], v228 offset:15552
	s_wait_loadcnt_dscnt 0x101
	v_mul_f64_e32 v[16:17], v[139:140], v[110:111]
	v_mul_f64_e32 v[18:19], v[137:138], v[110:111]
	s_delay_alu instid0(VALU_DEP_2) | instskip(NEXT) | instid1(VALU_DEP_2)
	v_fma_f64 v[16:17], v[137:138], v[108:109], -v[16:17]
	v_fma_f64 v[18:19], v[139:140], v[108:109], v[18:19]
	ds_load_b128 v[137:140], v228 offset:41472
	ds_load_b128 v[180:183], v228 offset:36288
	s_wait_loadcnt_dscnt 0x1
	v_mul_f64_e32 v[141:142], v[139:140], v[106:107]
	s_delay_alu instid0(VALU_DEP_1) | instskip(SKIP_1) | instid1(VALU_DEP_1)
	v_fma_f64 v[216:217], v[137:138], v[104:105], -v[141:142]
	v_mul_f64_e32 v[137:138], v[137:138], v[106:107]
	v_fma_f64 v[208:209], v[139:140], v[104:105], v[137:138]
	s_clause 0x1
	global_load_b128 v[140:143], v0, s[2:3] offset:20480
	global_load_b128 v[136:139], v0, s[2:3] offset:20496
	v_lshlrev_b32_e32 v0, 5, v144
	s_wait_loadcnt 0x1
	v_mul_f64_e32 v[149:150], v[147:148], v[142:143]
	s_delay_alu instid0(VALU_DEP_1) | instskip(SKIP_1) | instid1(VALU_DEP_1)
	v_fma_f64 v[200:201], v[145:146], v[140:141], -v[149:150]
	v_mul_f64_e32 v[145:146], v[145:146], v[142:143]
	v_fma_f64 v[196:197], v[147:148], v[140:141], v[145:146]
	s_wait_loadcnt 0x0
	v_mul_f64_e32 v[145:146], v[178:179], v[138:139]
	s_delay_alu instid0(VALU_DEP_1) | instskip(SKIP_1) | instid1(VALU_DEP_1)
	v_fma_f64 v[202:203], v[176:177], v[136:137], -v[145:146]
	v_mul_f64_e32 v[145:146], v[176:177], v[138:139]
	v_fma_f64 v[198:199], v[178:179], v[136:137], v[145:146]
	s_clause 0x1
	global_load_b128 v[148:151], v0, s[2:3] offset:20480
	global_load_b128 v[144:147], v0, s[2:3] offset:20496
	s_wait_loadcnt_dscnt 0x100
	v_mul_f64_e32 v[176:177], v[182:183], v[150:151]
	s_delay_alu instid0(VALU_DEP_1) | instskip(SKIP_1) | instid1(VALU_DEP_1)
	v_fma_f64 v[218:219], v[180:181], v[148:149], -v[176:177]
	v_mul_f64_e32 v[176:177], v[180:181], v[150:151]
	v_fma_f64 v[220:221], v[182:183], v[148:149], v[176:177]
	ds_load_b128 v[176:179], v228 offset:57024
	ds_load_b128 v[184:187], v228
	s_wait_loadcnt_dscnt 0x1
	v_mul_f64_e32 v[180:181], v[178:179], v[146:147]
	s_delay_alu instid0(VALU_DEP_1) | instskip(SKIP_2) | instid1(VALU_DEP_2)
	v_fma_f64 v[222:223], v[176:177], v[144:145], -v[180:181]
	v_mul_f64_e32 v[176:177], v[176:177], v[146:147]
	v_add_f64_e32 v[180:181], v[8:9], v[12:13]
	v_fma_f64 v[229:230], v[178:179], v[144:145], v[176:177]
	ds_load_b128 v[176:179], v228 offset:5184
	ds_load_b128 v[192:195], v228 offset:10368
	s_wait_dscnt 0x1
	v_fma_f64 v[182:183], v[180:181], -0.5, v[176:177]
	v_add_f64_e32 v[180:181], v[10:11], v[14:15]
	v_add_f64_e32 v[176:177], v[176:177], v[8:9]
	v_add_f64_e64 v[8:9], v[8:9], -v[12:13]
	s_delay_alu instid0(VALU_DEP_3)
	v_fma_f64 v[190:191], v[180:181], -0.5, v[178:179]
	v_add_f64_e32 v[178:179], v[178:179], v[10:11]
	v_add_f64_e64 v[10:11], v[10:11], -v[14:15]
	v_add_f64_e32 v[176:177], v[176:177], v[12:13]
	s_wait_dscnt 0x0
	v_add_f64_e32 v[12:13], v[194:195], v[196:197]
	s_delay_alu instid0(VALU_DEP_4) | instskip(NEXT) | instid1(VALU_DEP_4)
	v_add_f64_e32 v[178:179], v[178:179], v[14:15]
	v_fma_f64 v[180:181], v[10:11], s[10:11], v[182:183]
	v_fma_f64 v[188:189], v[10:11], s[14:15], v[182:183]
	;; [unrolled: 1-line block ×4, first 2 shown]
	v_add_f64_e32 v[8:9], v[200:201], v[202:203]
	v_add_f64_e32 v[10:11], v[196:197], v[198:199]
	;; [unrolled: 1-line block ×3, first 2 shown]
	s_delay_alu instid0(VALU_DEP_3) | instskip(NEXT) | instid1(VALU_DEP_3)
	v_fma_f64 v[8:9], v[8:9], -0.5, v[192:193]
	v_fma_f64 v[10:11], v[10:11], -0.5, v[194:195]
	v_add_f64_e64 v[192:193], v[196:197], -v[198:199]
	v_add_f64_e32 v[198:199], v[12:13], v[198:199]
	v_add_f64_e64 v[12:13], v[200:201], -v[202:203]
	v_add_f64_e32 v[196:197], v[14:15], v[202:203]
	v_add_f64_e32 v[14:15], v[184:185], v[16:17]
	v_fma_f64 v[200:201], v[192:193], s[10:11], v[8:9]
	v_fma_f64 v[204:205], v[192:193], s[14:15], v[8:9]
	;; [unrolled: 1-line block ×4, first 2 shown]
	v_add_f64_e32 v[8:9], v[16:17], v[216:217]
	v_add_f64_e32 v[10:11], v[18:19], v[208:209]
	;; [unrolled: 1-line block ×3, first 2 shown]
	v_add_f64_e64 v[18:19], v[18:19], -v[208:209]
	s_delay_alu instid0(VALU_DEP_4) | instskip(NEXT) | instid1(VALU_DEP_4)
	v_fma_f64 v[8:9], v[8:9], -0.5, v[184:185]
	v_fma_f64 v[10:11], v[10:11], -0.5, v[186:187]
	s_delay_alu instid0(VALU_DEP_4)
	v_add_f64_e32 v[210:211], v[12:13], v[208:209]
	v_add_f64_e64 v[12:13], v[16:17], -v[216:217]
	v_add_f64_e32 v[208:209], v[14:15], v[216:217]
	v_add_f64_e32 v[14:15], v[212:213], v[218:219]
	v_add_f64_e64 v[16:17], v[220:221], -v[229:230]
	v_fma_f64 v[184:185], v[18:19], s[10:11], v[8:9]
	v_fma_f64 v[192:193], v[18:19], s[14:15], v[8:9]
	v_add_f64_e32 v[8:9], v[218:219], v[222:223]
	v_fma_f64 v[186:187], v[12:13], s[14:15], v[10:11]
	v_fma_f64 v[194:195], v[12:13], s[10:11], v[10:11]
	v_add_f64_e32 v[10:11], v[220:221], v[229:230]
	v_add_f64_e32 v[12:13], v[214:215], v[220:221]
	v_fma_f64 v[8:9], v[8:9], -0.5, v[212:213]
	v_add_f64_e32 v[212:213], v[14:15], v[222:223]
	s_delay_alu instid0(VALU_DEP_4) | instskip(NEXT) | instid1(VALU_DEP_4)
	v_fma_f64 v[10:11], v[10:11], -0.5, v[214:215]
	v_add_f64_e32 v[214:215], v[12:13], v[229:230]
	v_add_f64_e64 v[12:13], v[218:219], -v[222:223]
	v_fma_f64 v[220:221], v[16:17], s[10:11], v[8:9]
	v_fma_f64 v[216:217], v[16:17], s[14:15], v[8:9]
	s_delay_alu instid0(VALU_DEP_3)
	v_fma_f64 v[222:223], v[12:13], s[14:15], v[10:11]
	v_fma_f64 v[218:219], v[12:13], s[10:11], v[10:11]
	ds_store_b128 v228, v[176:179] offset:5184
	ds_store_b128 v228, v[196:199] offset:10368
	ds_store_b128 v228, v[180:183] offset:25920
	ds_store_b128 v228, v[200:203] offset:31104
	ds_store_b128 v228, v[188:191] offset:46656
	ds_store_b128 v228, v[204:207] offset:51840
	ds_store_b128 v228, v[212:215] offset:15552
	ds_store_b128 v228, v[184:187] offset:20736
	ds_store_b128 v228, v[192:195] offset:41472
	ds_store_b128 v228, v[220:223] offset:36288
	ds_store_b128 v228, v[208:211]
	ds_store_b128 v228, v[216:219] offset:57024
	global_wb scope:SCOPE_SE
	s_wait_dscnt 0x0
	s_barrier_signal -1
	s_barrier_wait -1
	global_inv scope:SCOPE_SE
	s_and_saveexec_b32 s2, vcc_lo
	s_cbranch_execz .LBB0_9
; %bb.8:
	v_dual_mov_b32 v24, v243 :: v_dual_mov_b32 v25, v244
	v_dual_mov_b32 v26, v245 :: v_dual_mov_b32 v27, v246
	global_load_b128 v[244:247], v225, s[8:9] offset:62208
	s_add_nc_u64 s[0:1], s[8:9], 0xf300
	s_clause 0x2
	global_load_b128 v[248:251], v225, s[0:1] offset:3888
	global_load_b128 v[252:255], v225, s[0:1] offset:7776
	;; [unrolled: 1-line block ×3, first 2 shown]
	v_dual_mov_b32 v0, v233 :: v_dual_mov_b32 v1, v234
	v_dual_mov_b32 v2, v235 :: v_dual_mov_b32 v3, v236
	ds_load_b128 v[233:236], v228
	v_dual_mov_b32 v4, v237 :: v_dual_mov_b32 v5, v238
	v_dual_mov_b32 v6, v239 :: v_dual_mov_b32 v7, v240
	global_load_b128 v[237:240], v225, s[0:1] offset:15552
	s_wait_loadcnt_dscnt 0x400
	v_mul_f64_e32 v[8:9], v[235:236], v[246:247]
	v_mul_f64_e32 v[10:11], v[233:234], v[246:247]
	s_delay_alu instid0(VALU_DEP_2) | instskip(NEXT) | instid1(VALU_DEP_2)
	v_fma_f64 v[233:234], v[233:234], v[244:245], -v[8:9]
	v_fma_f64 v[235:236], v[235:236], v[244:245], v[10:11]
	global_load_b128 v[244:247], v225, s[0:1] offset:19440
	ds_store_b128 v228, v[233:236]
	ds_load_b128 v[233:236], v225 offset:3888
	ds_load_b128 v[8:11], v225 offset:7776
	;; [unrolled: 1-line block ×3, first 2 shown]
	global_load_b128 v[16:19], v225, s[0:1] offset:23328
	s_wait_loadcnt_dscnt 0x502
	v_mul_f64_e32 v[226:227], v[235:236], v[250:251]
	v_mul_f64_e32 v[250:251], v[233:234], v[250:251]
	s_delay_alu instid0(VALU_DEP_2) | instskip(NEXT) | instid1(VALU_DEP_2)
	v_fma_f64 v[233:234], v[233:234], v[248:249], -v[226:227]
	v_fma_f64 v[235:236], v[235:236], v[248:249], v[250:251]
	global_load_b128 v[248:251], v225, s[0:1] offset:27216
	s_wait_loadcnt_dscnt 0x501
	v_mul_f64_e32 v[226:227], v[10:11], v[254:255]
	v_mul_f64_e32 v[254:255], v[8:9], v[254:255]
	s_delay_alu instid0(VALU_DEP_2) | instskip(SKIP_3) | instid1(VALU_DEP_4)
	v_fma_f64 v[8:9], v[8:9], v[252:253], -v[226:227]
	s_wait_loadcnt_dscnt 0x400
	v_mul_f64_e32 v[226:227], v[14:15], v[231:232]
	v_mul_f64_e32 v[231:232], v[12:13], v[231:232]
	v_fma_f64 v[10:11], v[10:11], v[252:253], v[254:255]
	global_load_b128 v[252:255], v225, s[0:1] offset:31104
	v_fma_f64 v[12:13], v[12:13], v[229:230], -v[226:227]
	v_fma_f64 v[14:15], v[14:15], v[229:230], v[231:232]
	ds_store_b128 v225, v[233:236] offset:3888
	ds_store_b128 v225, v[8:11] offset:7776
	;; [unrolled: 1-line block ×3, first 2 shown]
	ds_load_b128 v[8:11], v228 offset:15552
	global_load_b128 v[12:15], v225, s[0:1] offset:34992
	s_wait_loadcnt_dscnt 0x500
	v_mul_f64_e32 v[226:227], v[10:11], v[239:240]
	v_mul_f64_e32 v[229:230], v[8:9], v[239:240]
	s_delay_alu instid0(VALU_DEP_2) | instskip(NEXT) | instid1(VALU_DEP_2)
	v_fma_f64 v[8:9], v[8:9], v[237:238], -v[226:227]
	v_fma_f64 v[10:11], v[10:11], v[237:238], v[229:230]
	ds_store_b128 v228, v[8:11] offset:15552
	ds_load_b128 v[8:11], v225 offset:19440
	ds_load_b128 v[229:232], v225 offset:23328
	;; [unrolled: 1-line block ×3, first 2 shown]
	global_load_b128 v[237:240], v225, s[0:1] offset:38880
	s_wait_loadcnt_dscnt 0x502
	v_mul_f64_e32 v[226:227], v[10:11], v[246:247]
	v_mul_f64_e32 v[246:247], v[8:9], v[246:247]
	s_delay_alu instid0(VALU_DEP_2) | instskip(SKIP_3) | instid1(VALU_DEP_4)
	v_fma_f64 v[8:9], v[8:9], v[244:245], -v[226:227]
	s_wait_loadcnt_dscnt 0x401
	v_mul_f64_e32 v[226:227], v[231:232], v[18:19]
	v_mul_f64_e32 v[18:19], v[229:230], v[18:19]
	v_fma_f64 v[10:11], v[10:11], v[244:245], v[246:247]
	s_delay_alu instid0(VALU_DEP_3) | instskip(NEXT) | instid1(VALU_DEP_3)
	v_fma_f64 v[229:230], v[229:230], v[16:17], -v[226:227]
	v_fma_f64 v[231:232], v[231:232], v[16:17], v[18:19]
	global_load_b128 v[16:19], v225, s[0:1] offset:42768
	s_wait_loadcnt_dscnt 0x400
	v_mul_f64_e32 v[244:245], v[235:236], v[250:251]
	v_mul_f64_e32 v[246:247], v[233:234], v[250:251]
	s_delay_alu instid0(VALU_DEP_2) | instskip(NEXT) | instid1(VALU_DEP_2)
	v_fma_f64 v[233:234], v[233:234], v[248:249], -v[244:245]
	v_fma_f64 v[235:236], v[235:236], v[248:249], v[246:247]
	ds_store_b128 v225, v[8:11] offset:19440
	ds_store_b128 v225, v[229:232] offset:23328
	;; [unrolled: 1-line block ×3, first 2 shown]
	ds_load_b128 v[8:11], v228 offset:31104
	global_load_b128 v[229:232], v225, s[0:1] offset:46656
	s_wait_loadcnt_dscnt 0x400
	v_mul_f64_e32 v[226:227], v[10:11], v[254:255]
	v_mul_f64_e32 v[233:234], v[8:9], v[254:255]
	s_delay_alu instid0(VALU_DEP_2) | instskip(NEXT) | instid1(VALU_DEP_2)
	v_fma_f64 v[8:9], v[8:9], v[252:253], -v[226:227]
	v_fma_f64 v[10:11], v[10:11], v[252:253], v[233:234]
	ds_store_b128 v228, v[8:11] offset:31104
	ds_load_b128 v[8:11], v225 offset:34992
	ds_load_b128 v[233:236], v225 offset:38880
	;; [unrolled: 1-line block ×3, first 2 shown]
	s_clause 0x1
	global_load_b128 v[248:251], v225, s[0:1] offset:50544
	global_load_b128 v[252:255], v225, s[0:1] offset:54432
	s_wait_loadcnt_dscnt 0x502
	v_mul_f64_e32 v[226:227], v[10:11], v[14:15]
	v_mul_f64_e32 v[14:15], v[8:9], v[14:15]
	s_delay_alu instid0(VALU_DEP_2) | instskip(NEXT) | instid1(VALU_DEP_2)
	v_fma_f64 v[8:9], v[8:9], v[12:13], -v[226:227]
	v_fma_f64 v[10:11], v[10:11], v[12:13], v[14:15]
	global_load_b128 v[12:15], v225, s[0:1] offset:58320
	s_wait_loadcnt_dscnt 0x501
	v_mul_f64_e32 v[226:227], v[235:236], v[239:240]
	v_mul_f64_e32 v[239:240], v[233:234], v[239:240]
	s_delay_alu instid0(VALU_DEP_2) | instskip(NEXT) | instid1(VALU_DEP_2)
	v_fma_f64 v[233:234], v[233:234], v[237:238], -v[226:227]
	v_fma_f64 v[235:236], v[235:236], v[237:238], v[239:240]
	s_wait_loadcnt_dscnt 0x400
	v_mul_f64_e32 v[226:227], v[246:247], v[18:19]
	v_mul_f64_e32 v[18:19], v[244:245], v[18:19]
	s_delay_alu instid0(VALU_DEP_2) | instskip(NEXT) | instid1(VALU_DEP_2)
	v_fma_f64 v[237:238], v[244:245], v[16:17], -v[226:227]
	v_fma_f64 v[239:240], v[246:247], v[16:17], v[18:19]
	ds_store_b128 v225, v[8:11] offset:34992
	ds_store_b128 v225, v[233:236] offset:38880
	;; [unrolled: 1-line block ×3, first 2 shown]
	ds_load_b128 v[8:11], v228 offset:46656
	s_wait_loadcnt_dscnt 0x300
	v_mul_f64_e32 v[16:17], v[10:11], v[231:232]
	v_mul_f64_e32 v[18:19], v[8:9], v[231:232]
	s_delay_alu instid0(VALU_DEP_2) | instskip(NEXT) | instid1(VALU_DEP_2)
	v_fma_f64 v[8:9], v[8:9], v[229:230], -v[16:17]
	v_fma_f64 v[10:11], v[10:11], v[229:230], v[18:19]
	ds_store_b128 v228, v[8:11] offset:46656
	ds_load_b128 v[8:11], v225 offset:50544
	ds_load_b128 v[16:19], v225 offset:54432
	;; [unrolled: 1-line block ×3, first 2 shown]
	s_wait_loadcnt_dscnt 0x202
	v_mul_f64_e32 v[226:227], v[10:11], v[250:251]
	v_mul_f64_e32 v[233:234], v[8:9], v[250:251]
	s_wait_loadcnt_dscnt 0x101
	v_mul_f64_e32 v[235:236], v[18:19], v[254:255]
	v_mul_f64_e32 v[237:238], v[16:17], v[254:255]
	s_delay_alu instid0(VALU_DEP_4) | instskip(NEXT) | instid1(VALU_DEP_4)
	v_fma_f64 v[8:9], v[8:9], v[248:249], -v[226:227]
	v_fma_f64 v[10:11], v[10:11], v[248:249], v[233:234]
	s_wait_loadcnt_dscnt 0x0
	v_mul_f64_e32 v[239:240], v[231:232], v[14:15]
	v_mul_f64_e32 v[244:245], v[229:230], v[14:15]
	v_fma_f64 v[14:15], v[16:17], v[252:253], -v[235:236]
	v_fma_f64 v[16:17], v[18:19], v[252:253], v[237:238]
	v_dual_mov_b32 v236, v3 :: v_dual_mov_b32 v235, v2
	v_dual_mov_b32 v234, v1 :: v_dual_mov_b32 v233, v0
	v_fma_f64 v[229:230], v[229:230], v[12:13], -v[239:240]
	v_fma_f64 v[231:232], v[231:232], v[12:13], v[244:245]
	v_dual_mov_b32 v240, v7 :: v_dual_mov_b32 v239, v6
	v_dual_mov_b32 v246, v27 :: v_dual_mov_b32 v245, v26
	;; [unrolled: 1-line block ×4, first 2 shown]
	ds_store_b128 v225, v[8:11] offset:50544
	ds_store_b128 v225, v[14:17] offset:54432
	;; [unrolled: 1-line block ×3, first 2 shown]
.LBB0_9:
	s_wait_alu 0xfffe
	s_or_b32 exec_lo, exec_lo, s2
	global_wb scope:SCOPE_SE
	s_wait_dscnt 0x0
	s_barrier_signal -1
	s_barrier_wait -1
	global_inv scope:SCOPE_SE
	s_and_saveexec_b32 s0, vcc_lo
	s_cbranch_execz .LBB0_11
; %bb.10:
	ds_load_b128 v[184:187], v228 offset:3888
	ds_load_b128 v[192:195], v228 offset:7776
	;; [unrolled: 1-line block ×14, first 2 shown]
	ds_load_b128 v[208:211], v228
	ds_load_b128 v[243:246], v228 offset:58320
.LBB0_11:
	s_wait_alu 0xfffe
	s_or_b32 exec_lo, exec_lo, s0
	global_wb scope:SCOPE_SE
	s_wait_dscnt 0x0
	s_barrier_signal -1
	s_barrier_wait -1
	global_inv scope:SCOPE_SE
	s_and_saveexec_b32 s20, vcc_lo
	s_cbranch_execz .LBB0_13
; %bb.12:
	v_add_f64_e64 v[220:221], v[192:193], -v[220:221]
	v_add_f64_e64 v[222:223], v[194:195], -v[222:223]
	;; [unrolled: 1-line block ×16, first 2 shown]
	s_mov_b32 s2, 0x667f3bcd
	s_mov_b32 s3, 0x3fe6a09e
	;; [unrolled: 1-line block ×3, first 2 shown]
	s_wait_alu 0xfffe
	s_mov_b32 s0, s2
	s_mov_b32 s16, 0xcf328d46
	;; [unrolled: 1-line block ×6, first 2 shown]
	s_wait_alu 0xfffe
	s_mov_b32 s14, s10
	s_mov_b32 s19, 0xbfed906b
	;; [unrolled: 1-line block ×3, first 2 shown]
	v_fma_f64 v[0:1], v[192:193], 2.0, -v[220:221]
	v_fma_f64 v[194:195], v[194:195], 2.0, -v[222:223]
	;; [unrolled: 1-line block ×16, first 2 shown]
	v_mov_b32_e32 v192, v242
	v_add_f64_e64 v[186:187], v[218:219], -v[226:227]
	v_add_f64_e32 v[190:191], v[229:230], v[216:217]
	v_add_f64_e32 v[226:227], v[22:23], v[212:213]
	;; [unrolled: 1-line block ×3, first 2 shown]
	scratch_store_b64 off, v[0:1], off offset:108 ; 8-byte Folded Spill
	v_add_f64_e64 v[246:247], v[0:1], -v[8:9]
	v_add_f64_e64 v[210:211], v[194:195], -v[10:11]
	;; [unrolled: 1-line block ×8, first 2 shown]
	v_add_f64_e32 v[180:181], v[18:19], v[220:221]
	v_add_f64_e64 v[182:183], v[214:215], -v[20:21]
	v_add_f64_e64 v[12:13], v[248:249], -v[244:245]
	v_add_f64_e32 v[14:15], v[250:251], v[239:240]
	v_add_f64_e64 v[184:185], v[208:209], -v[246:247]
	v_add_f64_e32 v[188:189], v[252:253], v[210:211]
	s_delay_alu instid0(VALU_DEP_2) | instskip(NEXT) | instid1(VALU_DEP_2)
	v_fma_f64 v[8:9], v[12:13], s[2:3], v[184:185]
	v_fma_f64 v[176:177], v[14:15], s[2:3], v[188:189]
	v_fma_f64 v[254:255], v[208:209], 2.0, -v[184:185]
	v_fma_f64 v[242:243], v[252:253], 2.0, -v[188:189]
	s_delay_alu instid0(VALU_DEP_4) | instskip(NEXT) | instid1(VALU_DEP_4)
	v_fma_f64 v[10:11], v[14:15], s[0:1], v[8:9]
	v_fma_f64 v[8:9], v[12:13], s[2:3], v[176:177]
	v_fma_f64 v[12:13], v[248:249], 2.0, -v[12:13]
	v_fma_f64 v[14:15], v[239:240], 2.0, -v[14:15]
	s_delay_alu instid0(VALU_DEP_2) | instskip(NEXT) | instid1(VALU_DEP_2)
	v_fma_f64 v[176:177], v[12:13], s[0:1], v[254:255]
	v_fma_f64 v[178:179], v[14:15], s[0:1], v[242:243]
	s_delay_alu instid0(VALU_DEP_2) | instskip(NEXT) | instid1(VALU_DEP_2)
	v_fma_f64 v[14:15], v[14:15], s[0:1], v[176:177]
	v_fma_f64 v[12:13], v[12:13], s[2:3], v[178:179]
	v_add_f64_e64 v[176:177], v[206:207], -v[233:234]
	v_add_f64_e64 v[178:179], v[222:223], -v[16:17]
	s_delay_alu instid0(VALU_DEP_1) | instskip(SKIP_1) | instid1(VALU_DEP_2)
	v_fma_f64 v[16:17], v[178:179], s[2:3], v[176:177]
	v_fma_f64 v[26:27], v[222:223], 2.0, -v[178:179]
	v_fma_f64 v[231:232], v[180:181], s[0:1], v[16:17]
	v_fma_f64 v[16:17], v[186:187], s[2:3], v[182:183]
	s_delay_alu instid0(VALU_DEP_2) | instskip(NEXT) | instid1(VALU_DEP_2)
	v_fma_f64 v[4:5], v[176:177], 2.0, -v[231:232]
	v_fma_f64 v[20:21], v[190:191], s[0:1], v[16:17]
	v_fma_f64 v[16:17], v[190:191], s[2:3], v[226:227]
	s_delay_alu instid0(VALU_DEP_1) | instskip(SKIP_1) | instid1(VALU_DEP_2)
	v_fma_f64 v[22:23], v[186:187], s[2:3], v[16:17]
	v_fma_f64 v[16:17], v[180:181], s[2:3], v[229:230]
	v_fma_f64 v[2:3], v[226:227], 2.0, -v[22:23]
	s_delay_alu instid0(VALU_DEP_2) | instskip(SKIP_2) | instid1(VALU_DEP_3)
	v_fma_f64 v[233:234], v[178:179], s[2:3], v[16:17]
	v_fma_f64 v[16:17], v[20:21], s[16:17], v[231:232]
	v_fma_f64 v[178:179], v[216:217], 2.0, -v[190:191]
	v_fma_f64 v[0:1], v[22:23], s[16:17], v[233:234]
	s_delay_alu instid0(VALU_DEP_3) | instskip(SKIP_2) | instid1(VALU_DEP_3)
	v_fma_f64 v[18:19], v[22:23], s[10:11], v[16:17]
	v_fma_f64 v[6:7], v[229:230], 2.0, -v[233:234]
	s_wait_alu 0xfffe
	v_fma_f64 v[16:17], v[20:21], s[14:15], v[0:1]
	v_fma_f64 v[0:1], v[182:183], 2.0, -v[20:21]
	s_delay_alu instid0(VALU_DEP_3) | instskip(SKIP_1) | instid1(VALU_DEP_3)
	v_fma_f64 v[24:25], v[2:3], s[10:11], v[6:7]
	v_fma_f64 v[190:191], v[231:232], 2.0, -v[18:19]
	v_fma_f64 v[20:21], v[0:1], s[10:11], v[4:5]
	s_delay_alu instid0(VALU_DEP_1) | instskip(NEXT) | instid1(VALU_DEP_4)
	v_fma_f64 v[22:23], v[2:3], s[18:19], v[20:21]
	v_fma_f64 v[20:21], v[0:1], s[16:17], v[24:25]
	v_fma_f64 v[0:1], v[214:215], 2.0, -v[182:183]
	v_fma_f64 v[2:3], v[218:219], 2.0, -v[186:187]
	;; [unrolled: 1-line block ×6, first 2 shown]
	v_fma_f64 v[186:187], v[2:3], s[0:1], v[0:1]
	s_delay_alu instid0(VALU_DEP_1) | instskip(NEXT) | instid1(VALU_DEP_4)
	v_fma_f64 v[186:187], v[178:179], s[0:1], v[186:187]
	v_fma_f64 v[178:179], v[178:179], s[0:1], v[180:181]
	s_delay_alu instid0(VALU_DEP_2) | instskip(NEXT) | instid1(VALU_DEP_2)
	v_fma_f64 v[0:1], v[0:1], 2.0, -v[186:187]
	v_fma_f64 v[2:3], v[2:3], s[2:3], v[178:179]
	v_fma_f64 v[178:179], v[176:177], s[0:1], v[182:183]
	s_delay_alu instid0(VALU_DEP_1) | instskip(SKIP_1) | instid1(VALU_DEP_2)
	v_fma_f64 v[204:205], v[26:27], s[2:3], v[178:179]
	v_fma_f64 v[26:27], v[26:27], s[0:1], v[24:25]
	v_fma_f64 v[206:207], v[182:183], 2.0, -v[204:205]
	s_delay_alu instid0(VALU_DEP_2) | instskip(SKIP_1) | instid1(VALU_DEP_2)
	v_fma_f64 v[26:27], v[176:177], s[0:1], v[26:27]
	v_fma_f64 v[176:177], v[2:3], s[14:15], v[204:205]
	;; [unrolled: 1-line block ×3, first 2 shown]
	v_fma_f64 v[24:25], v[24:25], 2.0, -v[26:27]
	s_delay_alu instid0(VALU_DEP_3) | instskip(NEXT) | instid1(VALU_DEP_3)
	v_fma_f64 v[176:177], v[186:187], s[16:17], v[176:177]
	v_fma_f64 v[178:179], v[2:3], s[18:19], v[178:179]
	v_fma_f64 v[2:3], v[180:181], 2.0, -v[2:3]
	s_delay_alu instid0(VALU_DEP_4) | instskip(NEXT) | instid1(VALU_DEP_2)
	v_fma_f64 v[180:181], v[0:1], s[18:19], v[24:25]
	v_fma_f64 v[186:187], v[2:3], s[18:19], v[206:207]
	s_delay_alu instid0(VALU_DEP_2) | instskip(SKIP_2) | instid1(VALU_DEP_4)
	v_fma_f64 v[182:183], v[2:3], s[10:11], v[180:181]
	v_fma_f64 v[2:3], v[194:195], 2.0, -v[210:211]
	v_fma_f64 v[194:195], v[202:203], 2.0, -v[252:253]
	v_fma_f64 v[180:181], v[0:1], s[14:15], v[186:187]
	v_fma_f64 v[186:187], v[184:185], 2.0, -v[10:11]
	v_fma_f64 v[184:185], v[188:189], 2.0, -v[8:9]
	;; [unrolled: 1-line block ×3, first 2 shown]
	v_and_b32_e32 v0, 0xffff, v224
	s_delay_alu instid0(VALU_DEP_1)
	v_lshlrev_b32_e32 v212, 4, v0
	ds_store_b128 v212, v[184:187] offset:96
	ds_store_b128 v212, v[188:191] offset:112
	v_fma_f64 v[184:185], v[242:243], 2.0, -v[12:13]
	ds_store_b128 v212, v[12:15] offset:160
	ds_store_b128 v212, v[20:23] offset:176
	v_fma_f64 v[12:13], v[6:7], 2.0, -v[20:21]
	scratch_load_b64 v[20:21], off, off offset:108 th:TH_LOAD_LU ; 8-byte Folded Reload
	v_fma_f64 v[186:187], v[254:255], 2.0, -v[14:15]
	v_mov_b32_e32 v242, v192
	v_fma_f64 v[14:15], v[4:5], 2.0, -v[22:23]
	v_fma_f64 v[0:1], v[200:201], 2.0, -v[208:209]
	;; [unrolled: 1-line block ×6, first 2 shown]
	ds_store_b128 v212, v[176:179] offset:208
	v_add_f64_e64 v[2:3], v[0:1], -v[2:3]
	v_add_f64_e64 v[6:7], v[4:5], -v[6:7]
	;; [unrolled: 1-line block ×3, first 2 shown]
	s_delay_alu instid0(VALU_DEP_3) | instskip(NEXT) | instid1(VALU_DEP_3)
	v_fma_f64 v[0:1], v[0:1], 2.0, -v[2:3]
	v_add_f64_e64 v[22:23], v[2:3], -v[6:7]
	v_fma_f64 v[4:5], v[4:5], 2.0, -v[6:7]
	s_delay_alu instid0(VALU_DEP_2) | instskip(SKIP_3) | instid1(VALU_DEP_1)
	v_fma_f64 v[190:191], v[2:3], 2.0, -v[22:23]
	v_fma_f64 v[2:3], v[192:193], 2.0, -v[198:199]
	s_wait_loadcnt 0x0
	v_fma_f64 v[20:21], v[20:21], 2.0, -v[246:247]
	v_add_f64_e64 v[196:197], v[194:195], -v[20:21]
	s_delay_alu instid0(VALU_DEP_1)
	v_add_f64_e32 v[20:21], v[196:197], v[198:199]
	v_fma_f64 v[198:199], v[24:25], 2.0, -v[182:183]
	ds_store_b128 v212, v[20:23] offset:192
	v_fma_f64 v[22:23], v[26:27], 2.0, -v[178:179]
	v_fma_f64 v[26:27], v[194:195], 2.0, -v[196:197]
	;; [unrolled: 1-line block ×4, first 2 shown]
	v_add_f64_e64 v[178:179], v[0:1], -v[2:3]
	v_fma_f64 v[196:197], v[206:207], 2.0, -v[180:181]
	v_add_f64_e64 v[176:177], v[26:27], -v[4:5]
	s_delay_alu instid0(VALU_DEP_3) | instskip(NEXT) | instid1(VALU_DEP_2)
	v_fma_f64 v[194:195], v[0:1], 2.0, -v[178:179]
	v_fma_f64 v[192:193], v[26:27], 2.0, -v[176:177]
	ds_store_b128 v212, v[184:187] offset:32
	ds_store_b128 v212, v[12:15] offset:48
	;; [unrolled: 1-line block ×6, first 2 shown]
	ds_store_b128 v212, v[192:195]
	ds_store_b128 v212, v[196:199] offset:16
	ds_store_b128 v212, v[8:11] offset:224
	;; [unrolled: 1-line block ×3, first 2 shown]
.LBB0_13:
	s_or_b32 exec_lo, exec_lo, s20
	global_wb scope:SCOPE_SE
	s_wait_storecnt_dscnt 0x0
	s_barrier_signal -1
	s_barrier_wait -1
	global_inv scope:SCOPE_SE
	ds_load_b128 v[8:11], v228 offset:20736
	ds_load_b128 v[12:15], v228 offset:41472
	;; [unrolled: 1-line block ×9, first 2 shown]
	scratch_load_b128 v[206:209], off, off offset:16 th:TH_LOAD_LU ; 16-byte Folded Reload
	s_mov_b32 s0, 0xe8584caa
	s_mov_b32 s1, 0xbfebb67a
	s_mov_b32 s3, 0x3febb67a
	s_wait_alu 0xfffe
	s_mov_b32 s2, s0
	s_wait_dscnt 0x6
	v_mul_f64_e32 v[24:25], v[158:159], v[18:19]
	v_mul_f64_e32 v[26:27], v[158:159], v[16:17]
	s_wait_dscnt 0x5
	v_mul_f64_e32 v[158:159], v[154:155], v[22:23]
	v_mul_f64_e32 v[154:155], v[154:155], v[20:21]
	;; [unrolled: 3-line block ×6, first 2 shown]
	v_fma_f64 v[16:17], v[156:157], v[16:17], v[24:25]
	v_fma_f64 v[18:19], v[156:157], v[18:19], -v[26:27]
	v_fma_f64 v[20:21], v[152:153], v[20:21], v[158:159]
	v_fma_f64 v[22:23], v[152:153], v[22:23], -v[154:155]
	;; [unrolled: 2-line block ×6, first 2 shown]
	v_add_f64_e32 v[168:169], v[16:17], v[20:21]
	v_add_f64_e32 v[170:171], v[18:19], v[22:23]
	v_add_f64_e32 v[172:173], v[24:25], v[152:153]
	v_add_f64_e32 v[174:175], v[26:27], v[154:155]
	s_wait_dscnt 0x0
	v_add_f64_e32 v[198:199], v[192:193], v[156:157]
	v_add_f64_e32 v[200:201], v[194:195], v[160:161]
	;; [unrolled: 1-line block ×4, first 2 shown]
	s_delay_alu instid0(VALU_DEP_2) | instskip(SKIP_1) | instid1(VALU_DEP_3)
	v_fma_f64 v[176:177], v[176:177], -0.5, v[192:193]
	v_add_f64_e64 v[192:193], v[156:157], -v[158:159]
	v_fma_f64 v[178:179], v[178:179], -0.5, v[194:195]
	s_wait_loadcnt 0x0
	v_mul_f64_e32 v[0:1], v[208:209], v[10:11]
	v_mul_f64_e32 v[2:3], v[208:209], v[8:9]
	scratch_load_b128 v[208:211], off, off th:TH_LOAD_LU ; 16-byte Folded Reload
	v_fma_f64 v[204:205], v[206:207], v[8:9], v[0:1]
	v_fma_f64 v[206:207], v[206:207], v[10:11], -v[2:3]
	ds_load_b128 v[0:3], v228
	s_wait_dscnt 0x0
	v_add_f64_e32 v[180:181], v[0:1], v[204:205]
	v_add_f64_e32 v[184:185], v[2:3], v[206:207]
	s_wait_loadcnt 0x0
	v_mul_f64_e32 v[6:7], v[210:211], v[12:13]
	v_mul_f64_e32 v[4:5], v[210:211], v[14:15]
	s_delay_alu instid0(VALU_DEP_2) | instskip(NEXT) | instid1(VALU_DEP_2)
	v_fma_f64 v[14:15], v[208:209], v[14:15], -v[6:7]
	v_fma_f64 v[12:13], v[208:209], v[12:13], v[4:5]
	ds_load_b128 v[4:7], v228 offset:5184
	ds_load_b128 v[8:11], v228 offset:10368
	v_add_f64_e64 v[208:209], v[160:161], -v[162:163]
	global_wb scope:SCOPE_SE
	s_wait_dscnt 0x0
	s_barrier_signal -1
	s_barrier_wait -1
	global_inv scope:SCOPE_SE
	v_add_f64_e32 v[188:189], v[6:7], v[18:19]
	v_add_f64_e32 v[190:191], v[8:9], v[24:25]
	v_add_f64_e64 v[24:25], v[24:25], -v[152:153]
	v_fma_f64 v[174:175], v[174:175], -0.5, v[10:11]
	v_fma_f64 v[170:171], v[170:171], -0.5, v[6:7]
	v_add_f64_e32 v[186:187], v[4:5], v[16:17]
	v_fma_f64 v[168:169], v[168:169], -0.5, v[4:5]
	v_add_f64_e32 v[196:197], v[10:11], v[26:27]
	v_add_f64_e64 v[26:27], v[26:27], -v[154:155]
	v_fma_f64 v[172:173], v[172:173], -0.5, v[8:9]
	v_add_f64_e32 v[166:167], v[206:207], v[14:15]
	v_add_f64_e64 v[202:203], v[204:205], -v[12:13]
	v_add_f64_e32 v[164:165], v[204:205], v[12:13]
	v_add_f64_e64 v[182:183], v[206:207], -v[14:15]
	v_add_f64_e64 v[204:205], v[18:19], -v[22:23]
	;; [unrolled: 1-line block ×3, first 2 shown]
	v_add_f64_e32 v[6:7], v[188:189], v[22:23]
	v_add_f64_e32 v[8:9], v[190:191], v[152:153]
	;; [unrolled: 1-line block ×4, first 2 shown]
	v_fma_f64 v[160:161], v[26:27], s[0:1], v[172:173]
	v_fma_f64 v[166:167], v[166:167], -0.5, v[2:3]
	v_add_f64_e32 v[2:3], v[184:185], v[14:15]
	v_add_f64_e32 v[14:15], v[200:201], v[162:163]
	s_wait_alu 0xfffe
	v_fma_f64 v[162:163], v[24:25], s[2:3], v[174:175]
	v_fma_f64 v[164:165], v[164:165], -0.5, v[0:1]
	v_add_f64_e32 v[0:1], v[180:181], v[12:13]
	v_fma_f64 v[152:153], v[204:205], s[0:1], v[168:169]
	v_fma_f64 v[154:155], v[206:207], s[2:3], v[170:171]
	v_add_f64_e32 v[12:13], v[198:199], v[158:159]
	v_fma_f64 v[156:157], v[204:205], s[2:3], v[168:169]
	v_fma_f64 v[158:159], v[206:207], s[0:1], v[170:171]
	;; [unrolled: 1-line block ×7, first 2 shown]
	scratch_load_b32 v24, off, off offset:104 th:TH_LOAD_LU ; 4-byte Folded Reload
	v_fma_f64 v[16:17], v[182:183], s[0:1], v[164:165]
	v_fma_f64 v[20:21], v[182:183], s[2:3], v[164:165]
	;; [unrolled: 1-line block ×5, first 2 shown]
	s_wait_loadcnt 0x0
	ds_store_b128 v24, v[0:3]
	ds_store_b128 v24, v[16:19] offset:256
	ds_store_b128 v24, v[20:23] offset:512
	scratch_load_b32 v0, off, off offset:100 th:TH_LOAD_LU ; 4-byte Folded Reload
	s_wait_loadcnt 0x0
	ds_store_b128 v0, v[4:7]
	ds_store_b128 v0, v[152:155] offset:256
	ds_store_b128 v0, v[156:159] offset:512
	scratch_load_b32 v0, off, off offset:96 th:TH_LOAD_LU ; 4-byte Folded Reload
	;; [unrolled: 5-line block ×3, first 2 shown]
	s_wait_loadcnt 0x0
	ds_store_b128 v0, v[12:15]
	ds_store_b128 v0, v[168:171] offset:256
	ds_store_b128 v0, v[172:175] offset:512
	global_wb scope:SCOPE_SE
	s_wait_dscnt 0x0
	s_barrier_signal -1
	s_barrier_wait -1
	global_inv scope:SCOPE_SE
	ds_load_b128 v[0:3], v228 offset:20736
	ds_load_b128 v[4:7], v228 offset:41472
	;; [unrolled: 1-line block ×9, first 2 shown]
	s_wait_dscnt 0x8
	v_mul_f64_e32 v[24:25], v[102:103], v[2:3]
	v_mul_f64_e32 v[26:27], v[102:103], v[0:1]
	s_wait_dscnt 0x7
	v_mul_f64_e32 v[102:103], v[98:99], v[6:7]
	v_mul_f64_e32 v[98:99], v[98:99], v[4:5]
	;; [unrolled: 3-line block ×4, first 2 shown]
	v_mul_f64_e32 v[164:165], v[118:119], v[10:11]
	v_mul_f64_e32 v[118:119], v[118:119], v[8:9]
	;; [unrolled: 1-line block ×4, first 2 shown]
	s_wait_dscnt 0x2
	v_mul_f64_e32 v[172:173], v[134:135], v[154:155]
	s_wait_dscnt 0x1
	v_mul_f64_e32 v[174:175], v[130:131], v[158:159]
	v_mul_f64_e32 v[130:131], v[130:131], v[156:157]
	;; [unrolled: 1-line block ×3, first 2 shown]
	v_fma_f64 v[24:25], v[100:101], v[0:1], v[24:25]
	v_fma_f64 v[26:27], v[100:101], v[2:3], -v[26:27]
	v_fma_f64 v[100:101], v[96:97], v[4:5], v[102:103]
	v_fma_f64 v[96:97], v[96:97], v[6:7], -v[98:99]
	ds_load_b128 v[0:3], v228
	v_fma_f64 v[18:19], v[124:125], v[18:19], -v[126:127]
	v_fma_f64 v[20:21], v[120:121], v[20:21], v[170:171]
	v_fma_f64 v[22:23], v[120:121], v[22:23], -v[122:123]
	v_fma_f64 v[98:99], v[116:117], v[8:9], v[164:165]
	v_fma_f64 v[102:103], v[116:117], v[10:11], -v[118:119]
	ds_load_b128 v[4:7], v228 offset:5184
	ds_load_b128 v[8:11], v228 offset:10368
	v_fma_f64 v[12:13], v[112:113], v[12:13], v[166:167]
	v_fma_f64 v[14:15], v[112:113], v[14:15], -v[114:115]
	v_fma_f64 v[112:113], v[132:133], v[152:153], v[172:173]
	v_fma_f64 v[118:119], v[128:129], v[158:159], -v[130:131]
	v_fma_f64 v[114:115], v[128:129], v[156:157], v[174:175]
	global_wb scope:SCOPE_SE
	s_wait_dscnt 0x0
	s_barrier_signal -1
	s_barrier_wait -1
	global_inv scope:SCOPE_SE
	v_fma_f64 v[16:17], v[124:125], v[16:17], v[168:169]
	v_fma_f64 v[116:117], v[132:133], v[154:155], -v[134:135]
	v_add_f64_e32 v[152:153], v[0:1], v[24:25]
	v_add_f64_e32 v[120:121], v[24:25], v[100:101]
	v_add_f64_e32 v[122:123], v[26:27], v[96:97]
	v_add_f64_e64 v[24:25], v[24:25], -v[100:101]
	v_add_f64_e32 v[166:167], v[10:11], v[18:19]
	v_add_f64_e64 v[154:155], v[26:27], -v[96:97]
	v_add_f64_e32 v[130:131], v[18:19], v[22:23]
	v_add_f64_e64 v[174:175], v[18:19], -v[22:23]
	v_add_f64_e32 v[26:27], v[2:3], v[26:27]
	v_add_f64_e32 v[156:157], v[4:5], v[98:99]
	v_add_f64_e32 v[124:125], v[98:99], v[12:13]
	;; [unrolled: 1-line block ×4, first 2 shown]
	v_add_f64_e64 v[102:103], v[102:103], -v[14:15]
	v_add_f64_e64 v[172:173], v[98:99], -v[12:13]
	v_add_f64_e32 v[132:133], v[112:113], v[114:115]
	v_add_f64_e32 v[168:169], v[160:161], v[112:113]
	;; [unrolled: 1-line block ×4, first 2 shown]
	v_add_f64_e64 v[176:177], v[16:17], -v[20:21]
	v_add_f64_e32 v[170:171], v[162:163], v[116:117]
	v_add_f64_e32 v[134:135], v[116:117], v[118:119]
	v_add_f64_e64 v[178:179], v[116:117], -v[118:119]
	v_fma_f64 v[120:121], v[120:121], -0.5, v[0:1]
	v_fma_f64 v[122:123], v[122:123], -0.5, v[2:3]
	v_add_f64_e32 v[0:1], v[152:153], v[100:101]
	v_fma_f64 v[130:131], v[130:131], -0.5, v[10:11]
	v_add_f64_e32 v[10:11], v[166:167], v[22:23]
	v_add_f64_e32 v[2:3], v[26:27], v[96:97]
	v_fma_f64 v[124:125], v[124:125], -0.5, v[4:5]
	v_fma_f64 v[126:127], v[126:127], -0.5, v[6:7]
	v_add_f64_e32 v[4:5], v[156:157], v[12:13]
	v_add_f64_e32 v[6:7], v[158:159], v[14:15]
	v_fma_f64 v[132:133], v[132:133], -0.5, v[160:161]
	v_add_f64_e64 v[160:161], v[112:113], -v[114:115]
	v_add_f64_e32 v[12:13], v[168:169], v[114:115]
	v_fma_f64 v[128:129], v[128:129], -0.5, v[8:9]
	v_add_f64_e32 v[8:9], v[164:165], v[20:21]
	v_add_f64_e32 v[14:15], v[170:171], v[118:119]
	v_fma_f64 v[134:135], v[134:135], -0.5, v[162:163]
	v_fma_f64 v[16:17], v[154:155], s[0:1], v[120:121]
	v_fma_f64 v[18:19], v[24:25], s[2:3], v[122:123]
	;; [unrolled: 1-line block ×3, first 2 shown]
	scratch_load_b32 v24, off, off offset:76 th:TH_LOAD_LU ; 4-byte Folded Reload
	v_fma_f64 v[20:21], v[154:155], s[2:3], v[120:121]
	v_fma_f64 v[114:115], v[176:177], s[2:3], v[130:131]
	;; [unrolled: 1-line block ×3, first 2 shown]
	s_wait_loadcnt 0x0
	ds_store_b128 v24, v[0:3]
	ds_store_b128 v24, v[16:19] offset:768
	ds_store_b128 v24, v[20:23] offset:1536
	scratch_load_b32 v0, off, off offset:72 th:TH_LOAD_LU ; 4-byte Folded Reload
	v_fma_f64 v[96:97], v[102:103], s[0:1], v[124:125]
	v_fma_f64 v[98:99], v[172:173], s[2:3], v[126:127]
	;; [unrolled: 1-line block ×10, first 2 shown]
	s_wait_loadcnt 0x0
	ds_store_b128 v0, v[4:7]
	ds_store_b128 v0, v[96:99] offset:768
	ds_store_b128 v0, v[100:103] offset:1536
	scratch_load_b32 v0, off, off offset:68 th:TH_LOAD_LU ; 4-byte Folded Reload
	s_wait_loadcnt 0x0
	ds_store_b128 v0, v[8:11]
	ds_store_b128 v0, v[112:115] offset:768
	ds_store_b128 v0, v[116:119] offset:1536
	scratch_load_b32 v0, off, off offset:64 th:TH_LOAD_LU ; 4-byte Folded Reload
	s_wait_loadcnt 0x0
	ds_store_b128 v0, v[12:15]
	ds_store_b128 v0, v[120:123] offset:768
	ds_store_b128 v0, v[124:127] offset:1536
	global_wb scope:SCOPE_SE
	s_wait_dscnt 0x0
	s_barrier_signal -1
	s_barrier_wait -1
	global_inv scope:SCOPE_SE
	ds_load_b128 v[0:3], v228 offset:20736
	ds_load_b128 v[4:7], v228 offset:41472
	;; [unrolled: 1-line block ×9, first 2 shown]
	s_wait_dscnt 0x8
	v_mul_f64_e32 v[24:25], v[38:39], v[2:3]
	v_mul_f64_e32 v[26:27], v[38:39], v[0:1]
	s_wait_dscnt 0x7
	v_mul_f64_e32 v[38:39], v[34:35], v[6:7]
	v_mul_f64_e32 v[34:35], v[34:35], v[4:5]
	s_wait_dscnt 0x4
	v_mul_f64_e32 v[120:121], v[58:59], v[18:19]
	v_mul_f64_e32 v[58:59], v[58:59], v[16:17]
	s_wait_dscnt 0x3
	v_mul_f64_e32 v[122:123], v[50:51], v[22:23]
	v_mul_f64_e32 v[50:51], v[50:51], v[20:21]
	v_mul_f64_e32 v[116:117], v[46:47], v[10:11]
	v_mul_f64_e32 v[46:47], v[46:47], v[8:9]
	;; [unrolled: 1-line block ×4, first 2 shown]
	s_wait_dscnt 0x2
	v_mul_f64_e32 v[124:125], v[74:75], v[98:99]
	s_wait_dscnt 0x1
	v_mul_f64_e32 v[126:127], v[70:71], v[102:103]
	v_mul_f64_e32 v[70:71], v[70:71], v[100:101]
	;; [unrolled: 1-line block ×3, first 2 shown]
	v_fma_f64 v[24:25], v[36:37], v[0:1], v[24:25]
	v_fma_f64 v[26:27], v[36:37], v[2:3], -v[26:27]
	v_fma_f64 v[36:37], v[32:33], v[4:5], v[38:39]
	v_fma_f64 v[32:33], v[32:33], v[6:7], -v[34:35]
	ds_load_b128 v[0:3], v228
	v_fma_f64 v[18:19], v[56:57], v[18:19], -v[58:59]
	v_fma_f64 v[20:21], v[48:49], v[20:21], v[122:123]
	v_fma_f64 v[22:23], v[48:49], v[22:23], -v[50:51]
	v_fma_f64 v[34:35], v[44:45], v[8:9], v[116:117]
	v_fma_f64 v[38:39], v[44:45], v[10:11], -v[46:47]
	ds_load_b128 v[4:7], v228 offset:5184
	ds_load_b128 v[8:11], v228 offset:10368
	v_fma_f64 v[12:13], v[40:41], v[12:13], v[118:119]
	v_fma_f64 v[14:15], v[40:41], v[14:15], -v[42:43]
	v_fma_f64 v[40:41], v[72:73], v[96:97], v[124:125]
	v_fma_f64 v[46:47], v[68:69], v[102:103], -v[70:71]
	v_fma_f64 v[42:43], v[68:69], v[100:101], v[126:127]
	global_wb scope:SCOPE_SE
	s_wait_dscnt 0x0
	s_barrier_signal -1
	s_barrier_wait -1
	global_inv scope:SCOPE_SE
	v_fma_f64 v[16:17], v[56:57], v[16:17], v[120:121]
	v_fma_f64 v[44:45], v[72:73], v[98:99], -v[74:75]
	v_add_f64_e32 v[96:97], v[0:1], v[24:25]
	v_add_f64_e32 v[48:49], v[24:25], v[36:37]
	;; [unrolled: 1-line block ×3, first 2 shown]
	v_add_f64_e64 v[24:25], v[24:25], -v[36:37]
	v_add_f64_e32 v[118:119], v[10:11], v[18:19]
	v_add_f64_e64 v[98:99], v[26:27], -v[32:33]
	v_add_f64_e32 v[70:71], v[18:19], v[22:23]
	;; [unrolled: 2-line block ×3, first 2 shown]
	v_add_f64_e32 v[100:101], v[4:5], v[34:35]
	v_add_f64_e32 v[56:57], v[34:35], v[12:13]
	;; [unrolled: 1-line block ×4, first 2 shown]
	v_add_f64_e64 v[38:39], v[38:39], -v[14:15]
	v_add_f64_e64 v[124:125], v[34:35], -v[12:13]
	v_add_f64_e32 v[72:73], v[40:41], v[42:43]
	v_add_f64_e32 v[120:121], v[112:113], v[40:41]
	;; [unrolled: 1-line block ×4, first 2 shown]
	v_add_f64_e64 v[128:129], v[16:17], -v[20:21]
	v_add_f64_e32 v[122:123], v[114:115], v[44:45]
	v_add_f64_e32 v[74:75], v[44:45], v[46:47]
	v_add_f64_e64 v[130:131], v[44:45], -v[46:47]
	v_fma_f64 v[48:49], v[48:49], -0.5, v[0:1]
	v_fma_f64 v[50:51], v[50:51], -0.5, v[2:3]
	v_add_f64_e32 v[0:1], v[96:97], v[36:37]
	v_fma_f64 v[70:71], v[70:71], -0.5, v[10:11]
	v_add_f64_e32 v[10:11], v[118:119], v[22:23]
	v_add_f64_e32 v[2:3], v[26:27], v[32:33]
	v_fma_f64 v[56:57], v[56:57], -0.5, v[4:5]
	v_fma_f64 v[58:59], v[58:59], -0.5, v[6:7]
	v_add_f64_e32 v[4:5], v[100:101], v[12:13]
	v_add_f64_e32 v[6:7], v[102:103], v[14:15]
	v_fma_f64 v[72:73], v[72:73], -0.5, v[112:113]
	v_add_f64_e64 v[112:113], v[40:41], -v[42:43]
	v_add_f64_e32 v[12:13], v[120:121], v[42:43]
	v_fma_f64 v[68:69], v[68:69], -0.5, v[8:9]
	v_add_f64_e32 v[8:9], v[116:117], v[20:21]
	v_add_f64_e32 v[14:15], v[122:123], v[46:47]
	v_fma_f64 v[74:75], v[74:75], -0.5, v[114:115]
	v_fma_f64 v[16:17], v[98:99], s[0:1], v[48:49]
	v_fma_f64 v[18:19], v[24:25], s[2:3], v[50:51]
	;; [unrolled: 1-line block ×3, first 2 shown]
	scratch_load_b32 v24, off, off offset:60 th:TH_LOAD_LU ; 4-byte Folded Reload
	v_fma_f64 v[20:21], v[98:99], s[2:3], v[48:49]
	v_fma_f64 v[42:43], v[128:129], s[2:3], v[70:71]
	;; [unrolled: 1-line block ×3, first 2 shown]
	s_wait_loadcnt 0x0
	ds_store_b128 v24, v[0:3]
	ds_store_b128 v24, v[16:19] offset:2304
	ds_store_b128 v24, v[20:23] offset:4608
	scratch_load_b32 v0, off, off offset:56 th:TH_LOAD_LU ; 4-byte Folded Reload
	v_fma_f64 v[32:33], v[38:39], s[0:1], v[56:57]
	v_fma_f64 v[34:35], v[124:125], s[2:3], v[58:59]
	;; [unrolled: 1-line block ×10, first 2 shown]
	s_wait_loadcnt 0x0
	ds_store_b128 v0, v[4:7]
	ds_store_b128 v0, v[32:35] offset:2304
	ds_store_b128 v0, v[36:39] offset:4608
	scratch_load_b32 v0, off, off offset:52 th:TH_LOAD_LU ; 4-byte Folded Reload
	s_wait_loadcnt 0x0
	ds_store_b128 v0, v[8:11]
	ds_store_b128 v0, v[40:43] offset:2304
	ds_store_b128 v0, v[44:47] offset:4608
	scratch_load_b32 v0, off, off offset:48 th:TH_LOAD_LU ; 4-byte Folded Reload
	s_wait_loadcnt 0x0
	ds_store_b128 v0, v[12:15]
	ds_store_b128 v0, v[48:51] offset:2304
	ds_store_b128 v0, v[56:59] offset:4608
	global_wb scope:SCOPE_SE
	s_wait_dscnt 0x0
	s_barrier_signal -1
	s_barrier_wait -1
	global_inv scope:SCOPE_SE
	ds_load_b128 v[0:3], v228 offset:20736
	ds_load_b128 v[4:7], v228 offset:41472
	;; [unrolled: 1-line block ×9, first 2 shown]
	scratch_load_b128 v[96:99], off, off offset:32 th:TH_LOAD_LU ; 16-byte Folded Reload
	s_wait_dscnt 0x8
	v_mul_f64_e32 v[24:25], v[30:31], v[2:3]
	v_mul_f64_e32 v[26:27], v[30:31], v[0:1]
	s_wait_dscnt 0x6
	v_mul_f64_e32 v[46:47], v[66:67], v[10:11]
	v_mul_f64_e32 v[48:49], v[66:67], v[8:9]
	;; [unrolled: 3-line block ×5, first 2 shown]
	s_wait_dscnt 0x2
	v_mul_f64_e32 v[70:71], v[90:91], v[34:35]
	s_wait_dscnt 0x1
	v_mul_f64_e32 v[78:79], v[86:87], v[36:37]
	v_mul_f64_e32 v[74:75], v[90:91], v[32:33]
	;; [unrolled: 1-line block ×3, first 2 shown]
	v_fma_f64 v[24:25], v[28:29], v[0:1], v[24:25]
	v_fma_f64 v[26:27], v[28:29], v[2:3], -v[26:27]
	ds_load_b128 v[0:3], v228
	v_fma_f64 v[12:13], v[60:61], v[12:13], v[50:51]
	v_fma_f64 v[14:15], v[60:61], v[14:15], -v[56:57]
	v_fma_f64 v[16:17], v[80:81], v[16:17], v[58:59]
	v_fma_f64 v[18:19], v[80:81], v[18:19], -v[62:63]
	;; [unrolled: 2-line block ×4, first 2 shown]
	v_fma_f64 v[34:35], v[88:89], v[34:35], -v[74:75]
	v_fma_f64 v[36:37], v[84:85], v[36:37], v[72:73]
	s_wait_dscnt 0x0
	v_add_f64_e32 v[68:69], v[0:1], v[24:25]
	v_add_f64_e32 v[60:61], v[16:17], v[20:21]
	;; [unrolled: 1-line block ×3, first 2 shown]
	v_add_f64_e64 v[84:85], v[18:19], -v[22:23]
	v_add_f64_e64 v[86:87], v[16:17], -v[20:21]
	v_add_f64_e32 v[80:81], v[40:41], v[32:33]
	v_add_f64_e32 v[82:83], v[42:43], v[34:35]
	;; [unrolled: 1-line block ×3, first 2 shown]
	v_add_f64_e64 v[88:89], v[34:35], -v[38:39]
	v_add_f64_e64 v[90:91], v[32:33], -v[36:37]
	s_delay_alu instid0(VALU_DEP_3) | instskip(NEXT) | instid1(VALU_DEP_1)
	v_fma_f64 v[66:67], v[66:67], -0.5, v[42:43]
	v_fma_f64 v[42:43], v[90:91], s[2:3], v[66:67]
	s_wait_loadcnt 0x0
	v_mul_f64_e32 v[30:31], v[98:99], v[6:7]
	v_mul_f64_e32 v[44:45], v[98:99], v[4:5]
	s_delay_alu instid0(VALU_DEP_2) | instskip(NEXT) | instid1(VALU_DEP_2)
	v_fma_f64 v[28:29], v[96:97], v[4:5], v[30:31]
	v_fma_f64 v[30:31], v[96:97], v[6:7], -v[44:45]
	v_fma_f64 v[44:45], v[64:65], v[8:9], v[46:47]
	v_fma_f64 v[46:47], v[64:65], v[10:11], -v[48:49]
	ds_load_b128 v[4:7], v228 offset:5184
	ds_load_b128 v[8:11], v228 offset:10368
	global_wb scope:SCOPE_SE
	s_wait_dscnt 0x0
	s_barrier_signal -1
	s_barrier_wait -1
	global_inv scope:SCOPE_SE
	v_add_f64_e32 v[64:65], v[32:33], v[36:37]
	v_add_f64_e32 v[76:77], v[8:9], v[16:17]
	;; [unrolled: 1-line block ×3, first 2 shown]
	v_fma_f64 v[60:61], v[60:61], -0.5, v[8:9]
	v_fma_f64 v[62:63], v[62:63], -0.5, v[10:11]
	v_add_f64_e32 v[48:49], v[24:25], v[28:29]
	v_add_f64_e32 v[50:51], v[26:27], v[30:31]
	v_add_f64_e64 v[70:71], v[26:27], -v[30:31]
	v_add_f64_e32 v[26:27], v[2:3], v[26:27]
	v_add_f64_e64 v[24:25], v[24:25], -v[28:29]
	v_add_f64_e32 v[56:57], v[44:45], v[12:13]
	v_add_f64_e32 v[58:59], v[46:47], v[14:15]
	;; [unrolled: 1-line block ×4, first 2 shown]
	v_add_f64_e64 v[46:47], v[46:47], -v[14:15]
	v_add_f64_e64 v[44:45], v[44:45], -v[12:13]
	v_fma_f64 v[64:65], v[64:65], -0.5, v[40:41]
	v_add_f64_e32 v[8:9], v[76:77], v[20:21]
	v_add_f64_e32 v[10:11], v[78:79], v[22:23]
	v_fma_f64 v[32:33], v[84:85], s[0:1], v[60:61]
	v_fma_f64 v[34:35], v[86:87], s[2:3], v[62:63]
	v_fma_f64 v[48:49], v[48:49], -0.5, v[0:1]
	v_fma_f64 v[50:51], v[50:51], -0.5, v[2:3]
	v_add_f64_e32 v[0:1], v[68:69], v[28:29]
	v_add_f64_e32 v[2:3], v[26:27], v[30:31]
	v_fma_f64 v[56:57], v[56:57], -0.5, v[4:5]
	v_fma_f64 v[58:59], v[58:59], -0.5, v[6:7]
	v_add_f64_e32 v[4:5], v[72:73], v[12:13]
	v_add_f64_e32 v[6:7], v[74:75], v[14:15]
	;; [unrolled: 1-line block ×4, first 2 shown]
	v_fma_f64 v[36:37], v[84:85], s[2:3], v[60:61]
	v_fma_f64 v[38:39], v[86:87], s[0:1], v[62:63]
	;; [unrolled: 1-line block ×7, first 2 shown]
	ds_store_b128 v228, v[0:3]
	ds_store_b128 v228, v[16:19] offset:6912
	ds_store_b128 v228, v[20:23] offset:13824
	scratch_load_b32 v0, off, off offset:88 th:TH_LOAD_LU ; 4-byte Folded Reload
	v_fma_f64 v[24:25], v[46:47], s[0:1], v[56:57]
	v_fma_f64 v[26:27], v[44:45], s[2:3], v[58:59]
	;; [unrolled: 1-line block ×6, first 2 shown]
	s_wait_loadcnt 0x0
	ds_store_b128 v0, v[4:7]
	ds_store_b128 v0, v[24:27] offset:6912
	ds_store_b128 v0, v[28:31] offset:13824
	scratch_load_b32 v0, off, off offset:84 th:TH_LOAD_LU ; 4-byte Folded Reload
	s_wait_loadcnt 0x0
	ds_store_b128 v0, v[8:11]
	ds_store_b128 v0, v[32:35] offset:6912
	ds_store_b128 v0, v[36:39] offset:13824
	scratch_load_b32 v0, off, off offset:80 th:TH_LOAD_LU ; 4-byte Folded Reload
	s_wait_loadcnt 0x0
	ds_store_b128 v0, v[12:15] offset:41472
	ds_store_b128 v0, v[40:43] offset:48384
	;; [unrolled: 1-line block ×3, first 2 shown]
	global_wb scope:SCOPE_SE
	s_wait_dscnt 0x0
	s_barrier_signal -1
	s_barrier_wait -1
	global_inv scope:SCOPE_SE
	ds_load_b128 v[0:3], v228 offset:20736
	ds_load_b128 v[4:7], v228 offset:41472
	;; [unrolled: 1-line block ×9, first 2 shown]
	s_wait_dscnt 0x8
	v_mul_f64_e32 v[36:37], v[110:111], v[2:3]
	s_wait_dscnt 0x7
	v_mul_f64_e32 v[38:39], v[106:107], v[6:7]
	;; [unrolled: 2-line block ×3, first 2 shown]
	v_mul_f64_e32 v[42:43], v[54:55], v[8:9]
	s_wait_dscnt 0x5
	v_mul_f64_e32 v[44:45], v[94:95], v[14:15]
	v_mul_f64_e32 v[46:47], v[94:95], v[12:13]
	s_wait_dscnt 0x4
	v_mul_f64_e32 v[48:49], v[142:143], v[18:19]
	;; [unrolled: 3-line block ×3, first 2 shown]
	v_mul_f64_e32 v[56:57], v[138:139], v[20:21]
	v_mul_f64_e32 v[58:59], v[110:111], v[0:1]
	;; [unrolled: 1-line block ×3, first 2 shown]
	s_wait_dscnt 0x2
	v_mul_f64_e32 v[62:63], v[150:151], v[26:27]
	v_mul_f64_e32 v[64:65], v[150:151], v[24:25]
	s_wait_dscnt 0x1
	v_mul_f64_e32 v[66:67], v[146:147], v[30:31]
	v_mul_f64_e32 v[68:69], v[146:147], v[28:29]
	v_fma_f64 v[36:37], v[108:109], v[0:1], v[36:37]
	v_fma_f64 v[38:39], v[104:105], v[4:5], v[38:39]
	;; [unrolled: 1-line block ×3, first 2 shown]
	v_fma_f64 v[42:43], v[52:53], v[10:11], -v[42:43]
	v_fma_f64 v[12:13], v[92:93], v[12:13], v[44:45]
	v_fma_f64 v[14:15], v[92:93], v[14:15], -v[46:47]
	v_fma_f64 v[16:17], v[140:141], v[16:17], v[48:49]
	v_fma_f64 v[18:19], v[140:141], v[18:19], -v[50:51]
	v_fma_f64 v[20:21], v[136:137], v[20:21], v[54:55]
	v_fma_f64 v[22:23], v[136:137], v[22:23], -v[56:57]
	v_fma_f64 v[44:45], v[108:109], v[2:3], -v[58:59]
	;; [unrolled: 1-line block ×3, first 2 shown]
	v_fma_f64 v[24:25], v[148:149], v[24:25], v[62:63]
	v_fma_f64 v[26:27], v[148:149], v[26:27], -v[64:65]
	v_fma_f64 v[28:29], v[144:145], v[28:29], v[66:67]
	v_fma_f64 v[30:31], v[144:145], v[30:31], -v[68:69]
	ds_load_b128 v[0:3], v228
	ds_load_b128 v[4:7], v228 offset:5184
	ds_load_b128 v[8:11], v228 offset:10368
	s_wait_dscnt 0x2
	v_add_f64_e32 v[64:65], v[0:1], v[36:37]
	v_add_f64_e32 v[48:49], v[36:37], v[38:39]
	s_wait_dscnt 0x1
	v_add_f64_e32 v[68:69], v[4:5], v[40:41]
	v_add_f64_e64 v[82:83], v[36:37], -v[38:39]
	v_add_f64_e32 v[50:51], v[40:41], v[12:13]
	v_add_f64_e32 v[52:53], v[42:43], v[14:15]
	v_add_f64_e64 v[70:71], v[42:43], -v[14:15]
	v_add_f64_e32 v[42:43], v[6:7], v[42:43]
	v_add_f64_e32 v[54:55], v[16:17], v[20:21]
	;; [unrolled: 1-line block ×3, first 2 shown]
	s_wait_dscnt 0x0
	v_add_f64_e32 v[72:73], v[8:9], v[16:17]
	v_add_f64_e32 v[58:59], v[44:45], v[46:47]
	;; [unrolled: 1-line block ×3, first 2 shown]
	v_add_f64_e64 v[40:41], v[40:41], -v[12:13]
	v_add_f64_e32 v[60:61], v[24:25], v[28:29]
	v_add_f64_e32 v[62:63], v[26:27], v[30:31]
	v_add_f64_e64 v[18:19], v[18:19], -v[22:23]
	v_add_f64_e64 v[80:81], v[16:17], -v[20:21]
	v_add_f64_e32 v[76:77], v[32:33], v[24:25]
	v_add_f64_e32 v[78:79], v[34:35], v[26:27]
	v_add_f64_e64 v[66:67], v[44:45], -v[46:47]
	v_add_f64_e64 v[84:85], v[26:27], -v[30:31]
	;; [unrolled: 1-line block ×3, first 2 shown]
	v_add_f64_e32 v[44:45], v[2:3], v[44:45]
	v_fma_f64 v[48:49], v[48:49], -0.5, v[0:1]
	v_add_f64_e32 v[0:1], v[64:65], v[38:39]
	v_fma_f64 v[50:51], v[50:51], -0.5, v[4:5]
	v_fma_f64 v[52:53], v[52:53], -0.5, v[6:7]
	v_add_f64_e32 v[4:5], v[68:69], v[12:13]
	v_add_f64_e32 v[6:7], v[42:43], v[14:15]
	v_fma_f64 v[54:55], v[54:55], -0.5, v[8:9]
	v_fma_f64 v[56:57], v[56:57], -0.5, v[10:11]
	v_add_f64_e32 v[8:9], v[72:73], v[20:21]
	v_fma_f64 v[58:59], v[58:59], -0.5, v[2:3]
	v_add_f64_e32 v[10:11], v[74:75], v[22:23]
	v_fma_f64 v[60:61], v[60:61], -0.5, v[32:33]
	v_fma_f64 v[62:63], v[62:63], -0.5, v[34:35]
	v_add_f64_e32 v[12:13], v[76:77], v[28:29]
	v_add_f64_e32 v[14:15], v[78:79], v[30:31]
	;; [unrolled: 1-line block ×3, first 2 shown]
	v_fma_f64 v[16:17], v[66:67], s[0:1], v[48:49]
	v_fma_f64 v[20:21], v[66:67], s[2:3], v[48:49]
	;; [unrolled: 1-line block ×16, first 2 shown]
	ds_store_b128 v228, v[4:7] offset:5184
	ds_store_b128 v228, v[8:11] offset:10368
	;; [unrolled: 1-line block ×10, first 2 shown]
	ds_store_b128 v228, v[0:3]
	ds_store_b128 v228, v[44:47] offset:57024
	global_wb scope:SCOPE_SE
	s_wait_dscnt 0x0
	s_barrier_signal -1
	s_barrier_wait -1
	global_inv scope:SCOPE_SE
	s_and_b32 exec_lo, exec_lo, vcc_lo
	s_cbranch_execz .LBB0_15
; %bb.14:
	s_clause 0xb
	global_load_b128 v[0:3], v225, s[8:9]
	global_load_b128 v[4:7], v225, s[8:9] offset:3888
	global_load_b128 v[8:11], v225, s[8:9] offset:7776
	;; [unrolled: 1-line block ×11, first 2 shown]
	v_mad_co_u64_u32 v[92:93], null, s6, v241, 0
	v_mad_co_u64_u32 v[104:105], null, s4, v242, 0
	ds_load_b128 v[48:51], v228
	s_mul_u64 s[0:1], s[4:5], 0xf30
	s_mov_b32 s2, 0xa88f4696
	s_mov_b32 s3, 0x3f30db20
	v_mov_b32_e32 v52, v93
	v_mov_b32_e32 v68, v105
	s_delay_alu instid0(VALU_DEP_2)
	v_mad_co_u64_u32 v[76:77], null, s7, v241, v[52:53]
	ds_load_b128 v[52:55], v225 offset:3888
	ds_load_b128 v[56:59], v225 offset:7776
	;; [unrolled: 1-line block ×4, first 2 shown]
	v_mad_co_u64_u32 v[94:95], null, s5, v242, v[68:69]
	ds_load_b128 v[68:71], v225 offset:23328
	ds_load_b128 v[72:75], v225 offset:27216
	v_mov_b32_e32 v93, v76
	ds_load_b128 v[76:79], v228 offset:15552
	ds_load_b128 v[80:83], v228 offset:31104
	;; [unrolled: 1-line block ×4, first 2 shown]
	v_mov_b32_e32 v105, v94
	v_lshlrev_b64_e32 v[106:107], 4, v[92:93]
	ds_load_b128 v[92:95], v228 offset:46656
	ds_load_b128 v[96:99], v225 offset:42768
	;; [unrolled: 1-line block ×3, first 2 shown]
	v_lshlrev_b64_e32 v[104:105], 4, v[104:105]
	v_add_co_u32 v130, vcc_lo, s12, v106
	v_add_co_ci_u32_e32 v131, vcc_lo, s13, v107, vcc_lo
	s_delay_alu instid0(VALU_DEP_2) | instskip(SKIP_1) | instid1(VALU_DEP_2)
	v_add_co_u32 v104, vcc_lo, v130, v104
	s_wait_alu 0xfffd
	v_add_co_ci_u32_e32 v105, vcc_lo, v131, v105, vcc_lo
	s_wait_alu 0xfffe
	s_delay_alu instid0(VALU_DEP_2) | instskip(SKIP_1) | instid1(VALU_DEP_2)
	v_add_co_u32 v130, vcc_lo, v104, s0
	s_wait_alu 0xfffd
	v_add_co_ci_u32_e32 v131, vcc_lo, s1, v105, vcc_lo
	s_delay_alu instid0(VALU_DEP_2) | instskip(SKIP_1) | instid1(VALU_DEP_2)
	v_add_co_u32 v132, vcc_lo, v130, s0
	s_wait_alu 0xfffd
	v_add_co_ci_u32_e32 v133, vcc_lo, s1, v131, vcc_lo
	s_wait_loadcnt_dscnt 0xb0d
	v_mul_f64_e32 v[106:107], v[50:51], v[2:3]
	v_mul_f64_e32 v[2:3], v[48:49], v[2:3]
	s_wait_loadcnt_dscnt 0xa0c
	v_mul_f64_e32 v[108:109], v[54:55], v[6:7]
	v_mul_f64_e32 v[6:7], v[52:53], v[6:7]
	;; [unrolled: 3-line block ×5, first 2 shown]
	s_wait_loadcnt 0x6
	v_mul_f64_e32 v[116:117], v[66:67], v[22:23]
	v_mul_f64_e32 v[22:23], v[64:65], v[22:23]
	s_wait_loadcnt 0x5
	v_mul_f64_e32 v[118:119], v[70:71], v[26:27]
	v_mul_f64_e32 v[26:27], v[68:69], v[26:27]
	;; [unrolled: 3-line block ×3, first 2 shown]
	s_wait_loadcnt_dscnt 0x305
	v_mul_f64_e32 v[122:123], v[82:83], v[34:35]
	v_mul_f64_e32 v[34:35], v[80:81], v[34:35]
	s_wait_loadcnt_dscnt 0x204
	v_mul_f64_e32 v[124:125], v[86:87], v[38:39]
	v_mul_f64_e32 v[38:39], v[84:85], v[38:39]
	;; [unrolled: 3-line block ×4, first 2 shown]
	v_fma_f64 v[48:49], v[48:49], v[0:1], v[106:107]
	v_fma_f64 v[2:3], v[0:1], v[50:51], -v[2:3]
	v_fma_f64 v[50:51], v[52:53], v[4:5], v[108:109]
	v_fma_f64 v[6:7], v[4:5], v[54:55], -v[6:7]
	;; [unrolled: 2-line block ×12, first 2 shown]
	v_add_co_u32 v72, vcc_lo, v132, s0
	s_wait_alu 0xfffd
	v_add_co_ci_u32_e32 v73, vcc_lo, s1, v133, vcc_lo
	s_delay_alu instid0(VALU_DEP_2) | instskip(SKIP_1) | instid1(VALU_DEP_2)
	v_add_co_u32 v74, vcc_lo, v72, s0
	s_wait_alu 0xfffd
	v_add_co_ci_u32_e32 v75, vcc_lo, s1, v73, vcc_lo
	s_delay_alu instid0(VALU_DEP_2) | instskip(SKIP_1) | instid1(VALU_DEP_2)
	v_add_co_u32 v76, vcc_lo, v74, s0
	s_wait_alu 0xfffd
	v_add_co_ci_u32_e32 v77, vcc_lo, s1, v75, vcc_lo
	v_mul_f64_e32 v[0:1], s[2:3], v[48:49]
	v_mul_f64_e32 v[2:3], s[2:3], v[2:3]
	;; [unrolled: 1-line block ×24, first 2 shown]
	v_add_co_u32 v48, vcc_lo, v76, s0
	s_wait_alu 0xfffd
	v_add_co_ci_u32_e32 v49, vcc_lo, s1, v77, vcc_lo
	s_delay_alu instid0(VALU_DEP_2) | instskip(SKIP_1) | instid1(VALU_DEP_2)
	v_add_co_u32 v50, vcc_lo, v48, s0
	s_wait_alu 0xfffd
	v_add_co_ci_u32_e32 v51, vcc_lo, s1, v49, vcc_lo
	s_delay_alu instid0(VALU_DEP_2) | instskip(SKIP_1) | instid1(VALU_DEP_2)
	v_add_co_u32 v52, vcc_lo, v50, s0
	s_wait_alu 0xfffd
	v_add_co_ci_u32_e32 v53, vcc_lo, s1, v51, vcc_lo
	s_delay_alu instid0(VALU_DEP_2) | instskip(SKIP_1) | instid1(VALU_DEP_2)
	v_add_co_u32 v54, vcc_lo, v52, s0
	s_wait_alu 0xfffd
	v_add_co_ci_u32_e32 v55, vcc_lo, s1, v53, vcc_lo
	s_delay_alu instid0(VALU_DEP_2) | instskip(SKIP_1) | instid1(VALU_DEP_2)
	v_add_co_u32 v56, vcc_lo, v54, s0
	s_wait_alu 0xfffd
	v_add_co_ci_u32_e32 v57, vcc_lo, s1, v55, vcc_lo
	s_delay_alu instid0(VALU_DEP_2) | instskip(SKIP_1) | instid1(VALU_DEP_2)
	v_add_co_u32 v58, vcc_lo, v56, s0
	s_wait_alu 0xfffd
	v_add_co_ci_u32_e32 v59, vcc_lo, s1, v57, vcc_lo
	s_clause 0x4
	global_store_b128 v[104:105], v[0:3], off
	global_store_b128 v[130:131], v[4:7], off
	;; [unrolled: 1-line block ×12, first 2 shown]
	global_load_b128 v[0:3], v225, s[8:9] offset:46656
	s_wait_loadcnt 0x0
	v_mul_f64_e32 v[4:5], v[94:95], v[2:3]
	v_mul_f64_e32 v[2:3], v[92:93], v[2:3]
	s_delay_alu instid0(VALU_DEP_2) | instskip(NEXT) | instid1(VALU_DEP_2)
	v_fma_f64 v[4:5], v[92:93], v[0:1], v[4:5]
	v_fma_f64 v[2:3], v[0:1], v[94:95], -v[2:3]
	s_delay_alu instid0(VALU_DEP_2) | instskip(NEXT) | instid1(VALU_DEP_2)
	v_mul_f64_e32 v[0:1], s[2:3], v[4:5]
	v_mul_f64_e32 v[2:3], s[2:3], v[2:3]
	v_add_co_u32 v4, vcc_lo, v58, s0
	s_wait_alu 0xfffd
	v_add_co_ci_u32_e32 v5, vcc_lo, s1, v59, vcc_lo
	s_delay_alu instid0(VALU_DEP_2) | instskip(SKIP_1) | instid1(VALU_DEP_2)
	v_add_co_u32 v12, vcc_lo, v4, s0
	s_wait_alu 0xfffd
	v_add_co_ci_u32_e32 v13, vcc_lo, s1, v5, vcc_lo
	global_store_b128 v[4:5], v[0:3], off
	global_load_b128 v[0:3], v225, s[8:9] offset:50544
	s_wait_loadcnt_dscnt 0x0
	v_mul_f64_e32 v[6:7], v[102:103], v[2:3]
	v_mul_f64_e32 v[2:3], v[100:101], v[2:3]
	s_delay_alu instid0(VALU_DEP_2) | instskip(NEXT) | instid1(VALU_DEP_2)
	v_fma_f64 v[6:7], v[100:101], v[0:1], v[6:7]
	v_fma_f64 v[2:3], v[0:1], v[102:103], -v[2:3]
	s_delay_alu instid0(VALU_DEP_2) | instskip(NEXT) | instid1(VALU_DEP_2)
	v_mul_f64_e32 v[0:1], s[2:3], v[6:7]
	v_mul_f64_e32 v[2:3], s[2:3], v[2:3]
	global_store_b128 v[12:13], v[0:3], off
	global_load_b128 v[0:3], v225, s[8:9] offset:54432
	ds_load_b128 v[4:7], v225 offset:54432
	ds_load_b128 v[8:11], v225 offset:58320
	s_wait_loadcnt_dscnt 0x1
	v_mul_f64_e32 v[14:15], v[6:7], v[2:3]
	v_mul_f64_e32 v[2:3], v[4:5], v[2:3]
	s_delay_alu instid0(VALU_DEP_2) | instskip(NEXT) | instid1(VALU_DEP_2)
	v_fma_f64 v[4:5], v[4:5], v[0:1], v[14:15]
	v_fma_f64 v[2:3], v[0:1], v[6:7], -v[2:3]
	s_delay_alu instid0(VALU_DEP_2) | instskip(NEXT) | instid1(VALU_DEP_2)
	v_mul_f64_e32 v[0:1], s[2:3], v[4:5]
	v_mul_f64_e32 v[2:3], s[2:3], v[2:3]
	v_add_co_u32 v4, vcc_lo, v12, s0
	s_wait_alu 0xfffd
	v_add_co_ci_u32_e32 v5, vcc_lo, s1, v13, vcc_lo
	global_store_b128 v[4:5], v[0:3], off
	global_load_b128 v[0:3], v225, s[8:9] offset:58320
	v_add_co_u32 v4, vcc_lo, v4, s0
	s_wait_alu 0xfffd
	v_add_co_ci_u32_e32 v5, vcc_lo, s1, v5, vcc_lo
	s_wait_loadcnt_dscnt 0x0
	v_mul_f64_e32 v[6:7], v[10:11], v[2:3]
	v_mul_f64_e32 v[2:3], v[8:9], v[2:3]
	s_delay_alu instid0(VALU_DEP_2) | instskip(NEXT) | instid1(VALU_DEP_2)
	v_fma_f64 v[6:7], v[8:9], v[0:1], v[6:7]
	v_fma_f64 v[2:3], v[0:1], v[10:11], -v[2:3]
	s_delay_alu instid0(VALU_DEP_2) | instskip(NEXT) | instid1(VALU_DEP_2)
	v_mul_f64_e32 v[0:1], s[2:3], v[6:7]
	v_mul_f64_e32 v[2:3], s[2:3], v[2:3]
	global_store_b128 v[4:5], v[0:3], off
.LBB0_15:
	s_nop 0
	s_sendmsg sendmsg(MSG_DEALLOC_VGPRS)
	s_endpgm
	.section	.rodata,"a",@progbits
	.p2align	6, 0x0
	.amdhsa_kernel bluestein_single_back_len3888_dim1_dp_op_CI_CI
		.amdhsa_group_segment_fixed_size 62208
		.amdhsa_private_segment_fixed_size 120
		.amdhsa_kernarg_size 104
		.amdhsa_user_sgpr_count 2
		.amdhsa_user_sgpr_dispatch_ptr 0
		.amdhsa_user_sgpr_queue_ptr 0
		.amdhsa_user_sgpr_kernarg_segment_ptr 1
		.amdhsa_user_sgpr_dispatch_id 0
		.amdhsa_user_sgpr_private_segment_size 0
		.amdhsa_wavefront_size32 1
		.amdhsa_uses_dynamic_stack 0
		.amdhsa_enable_private_segment 1
		.amdhsa_system_sgpr_workgroup_id_x 1
		.amdhsa_system_sgpr_workgroup_id_y 0
		.amdhsa_system_sgpr_workgroup_id_z 0
		.amdhsa_system_sgpr_workgroup_info 0
		.amdhsa_system_vgpr_workitem_id 0
		.amdhsa_next_free_vgpr 256
		.amdhsa_next_free_sgpr 21
		.amdhsa_reserve_vcc 1
		.amdhsa_float_round_mode_32 0
		.amdhsa_float_round_mode_16_64 0
		.amdhsa_float_denorm_mode_32 3
		.amdhsa_float_denorm_mode_16_64 3
		.amdhsa_fp16_overflow 0
		.amdhsa_workgroup_processor_mode 1
		.amdhsa_memory_ordered 1
		.amdhsa_forward_progress 0
		.amdhsa_round_robin_scheduling 0
		.amdhsa_exception_fp_ieee_invalid_op 0
		.amdhsa_exception_fp_denorm_src 0
		.amdhsa_exception_fp_ieee_div_zero 0
		.amdhsa_exception_fp_ieee_overflow 0
		.amdhsa_exception_fp_ieee_underflow 0
		.amdhsa_exception_fp_ieee_inexact 0
		.amdhsa_exception_int_div_zero 0
	.end_amdhsa_kernel
	.text
.Lfunc_end0:
	.size	bluestein_single_back_len3888_dim1_dp_op_CI_CI, .Lfunc_end0-bluestein_single_back_len3888_dim1_dp_op_CI_CI
                                        ; -- End function
	.section	.AMDGPU.csdata,"",@progbits
; Kernel info:
; codeLenInByte = 18852
; NumSgprs: 23
; NumVgprs: 256
; ScratchSize: 120
; MemoryBound: 0
; FloatMode: 240
; IeeeMode: 1
; LDSByteSize: 62208 bytes/workgroup (compile time only)
; SGPRBlocks: 2
; VGPRBlocks: 31
; NumSGPRsForWavesPerEU: 23
; NumVGPRsForWavesPerEU: 256
; Occupancy: 5
; WaveLimiterHint : 1
; COMPUTE_PGM_RSRC2:SCRATCH_EN: 1
; COMPUTE_PGM_RSRC2:USER_SGPR: 2
; COMPUTE_PGM_RSRC2:TRAP_HANDLER: 0
; COMPUTE_PGM_RSRC2:TGID_X_EN: 1
; COMPUTE_PGM_RSRC2:TGID_Y_EN: 0
; COMPUTE_PGM_RSRC2:TGID_Z_EN: 0
; COMPUTE_PGM_RSRC2:TIDIG_COMP_CNT: 0
	.text
	.p2alignl 7, 3214868480
	.fill 96, 4, 3214868480
	.type	__hip_cuid_c599f8928f83b037,@object ; @__hip_cuid_c599f8928f83b037
	.section	.bss,"aw",@nobits
	.globl	__hip_cuid_c599f8928f83b037
__hip_cuid_c599f8928f83b037:
	.byte	0                               ; 0x0
	.size	__hip_cuid_c599f8928f83b037, 1

	.ident	"AMD clang version 19.0.0git (https://github.com/RadeonOpenCompute/llvm-project roc-6.4.0 25133 c7fe45cf4b819c5991fe208aaa96edf142730f1d)"
	.section	".note.GNU-stack","",@progbits
	.addrsig
	.addrsig_sym __hip_cuid_c599f8928f83b037
	.amdgpu_metadata
---
amdhsa.kernels:
  - .args:
      - .actual_access:  read_only
        .address_space:  global
        .offset:         0
        .size:           8
        .value_kind:     global_buffer
      - .actual_access:  read_only
        .address_space:  global
        .offset:         8
        .size:           8
        .value_kind:     global_buffer
      - .actual_access:  read_only
        .address_space:  global
        .offset:         16
        .size:           8
        .value_kind:     global_buffer
      - .actual_access:  read_only
        .address_space:  global
        .offset:         24
        .size:           8
        .value_kind:     global_buffer
      - .actual_access:  read_only
        .address_space:  global
        .offset:         32
        .size:           8
        .value_kind:     global_buffer
      - .offset:         40
        .size:           8
        .value_kind:     by_value
      - .address_space:  global
        .offset:         48
        .size:           8
        .value_kind:     global_buffer
      - .address_space:  global
        .offset:         56
        .size:           8
        .value_kind:     global_buffer
      - .address_space:  global
        .offset:         64
        .size:           8
        .value_kind:     global_buffer
      - .address_space:  global
        .offset:         72
        .size:           8
        .value_kind:     global_buffer
      - .offset:         80
        .size:           4
        .value_kind:     by_value
      - .address_space:  global
        .offset:         88
        .size:           8
        .value_kind:     global_buffer
      - .address_space:  global
        .offset:         96
        .size:           8
        .value_kind:     global_buffer
    .group_segment_fixed_size: 62208
    .kernarg_segment_align: 8
    .kernarg_segment_size: 104
    .language:       OpenCL C
    .language_version:
      - 2
      - 0
    .max_flat_workgroup_size: 324
    .name:           bluestein_single_back_len3888_dim1_dp_op_CI_CI
    .private_segment_fixed_size: 120
    .sgpr_count:     23
    .sgpr_spill_count: 0
    .symbol:         bluestein_single_back_len3888_dim1_dp_op_CI_CI.kd
    .uniform_work_group_size: 1
    .uses_dynamic_stack: false
    .vgpr_count:     256
    .vgpr_spill_count: 29
    .wavefront_size: 32
    .workgroup_processor_mode: 1
amdhsa.target:   amdgcn-amd-amdhsa--gfx1201
amdhsa.version:
  - 1
  - 2
...

	.end_amdgpu_metadata
